;; amdgpu-corpus repo=ROCm/rocFFT kind=compiled arch=gfx906 opt=O3
	.text
	.amdgcn_target "amdgcn-amd-amdhsa--gfx906"
	.amdhsa_code_object_version 6
	.protected	fft_rtc_fwd_len2700_factors_3_10_10_3_3_wgs_90_tpt_90_halfLds_half_ip_CI_unitstride_sbrr_R2C_dirReg ; -- Begin function fft_rtc_fwd_len2700_factors_3_10_10_3_3_wgs_90_tpt_90_halfLds_half_ip_CI_unitstride_sbrr_R2C_dirReg
	.globl	fft_rtc_fwd_len2700_factors_3_10_10_3_3_wgs_90_tpt_90_halfLds_half_ip_CI_unitstride_sbrr_R2C_dirReg
	.p2align	8
	.type	fft_rtc_fwd_len2700_factors_3_10_10_3_3_wgs_90_tpt_90_halfLds_half_ip_CI_unitstride_sbrr_R2C_dirReg,@function
fft_rtc_fwd_len2700_factors_3_10_10_3_3_wgs_90_tpt_90_halfLds_half_ip_CI_unitstride_sbrr_R2C_dirReg: ; @fft_rtc_fwd_len2700_factors_3_10_10_3_3_wgs_90_tpt_90_halfLds_half_ip_CI_unitstride_sbrr_R2C_dirReg
; %bb.0:
	s_load_dwordx2 s[2:3], s[4:5], 0x50
	s_load_dwordx4 s[8:11], s[4:5], 0x0
	s_load_dwordx2 s[12:13], s[4:5], 0x18
	v_mul_u32_u24_e32 v1, 0x2d9, v0
	v_add_u32_sdwa v5, s6, v1 dst_sel:DWORD dst_unused:UNUSED_PAD src0_sel:DWORD src1_sel:WORD_1
	v_mov_b32_e32 v3, 0
	s_waitcnt lgkmcnt(0)
	v_cmp_lt_u64_e64 s[0:1], s[10:11], 2
	v_mov_b32_e32 v1, 0
	v_mov_b32_e32 v6, v3
	s_and_b64 vcc, exec, s[0:1]
	v_mov_b32_e32 v2, 0
	s_cbranch_vccnz .LBB0_8
; %bb.1:
	s_load_dwordx2 s[0:1], s[4:5], 0x10
	s_add_u32 s6, s12, 8
	s_addc_u32 s7, s13, 0
	v_mov_b32_e32 v1, 0
	v_mov_b32_e32 v2, 0
	s_waitcnt lgkmcnt(0)
	s_add_u32 s14, s0, 8
	s_addc_u32 s15, s1, 0
	s_mov_b64 s[16:17], 1
.LBB0_2:                                ; =>This Inner Loop Header: Depth=1
	s_load_dwordx2 s[18:19], s[14:15], 0x0
                                        ; implicit-def: $vgpr7_vgpr8
	s_waitcnt lgkmcnt(0)
	v_or_b32_e32 v4, s19, v6
	v_cmp_ne_u64_e32 vcc, 0, v[3:4]
	s_and_saveexec_b64 s[0:1], vcc
	s_xor_b64 s[20:21], exec, s[0:1]
	s_cbranch_execz .LBB0_4
; %bb.3:                                ;   in Loop: Header=BB0_2 Depth=1
	v_cvt_f32_u32_e32 v4, s18
	v_cvt_f32_u32_e32 v7, s19
	s_sub_u32 s0, 0, s18
	s_subb_u32 s1, 0, s19
	v_mac_f32_e32 v4, 0x4f800000, v7
	v_rcp_f32_e32 v4, v4
	v_mul_f32_e32 v4, 0x5f7ffffc, v4
	v_mul_f32_e32 v7, 0x2f800000, v4
	v_trunc_f32_e32 v7, v7
	v_mac_f32_e32 v4, 0xcf800000, v7
	v_cvt_u32_f32_e32 v7, v7
	v_cvt_u32_f32_e32 v4, v4
	v_mul_lo_u32 v8, s0, v7
	v_mul_hi_u32 v9, s0, v4
	v_mul_lo_u32 v11, s1, v4
	v_mul_lo_u32 v10, s0, v4
	v_add_u32_e32 v8, v9, v8
	v_add_u32_e32 v8, v8, v11
	v_mul_hi_u32 v9, v4, v10
	v_mul_lo_u32 v11, v4, v8
	v_mul_hi_u32 v13, v4, v8
	v_mul_hi_u32 v12, v7, v10
	v_mul_lo_u32 v10, v7, v10
	v_mul_hi_u32 v14, v7, v8
	v_add_co_u32_e32 v9, vcc, v9, v11
	v_addc_co_u32_e32 v11, vcc, 0, v13, vcc
	v_mul_lo_u32 v8, v7, v8
	v_add_co_u32_e32 v9, vcc, v9, v10
	v_addc_co_u32_e32 v9, vcc, v11, v12, vcc
	v_addc_co_u32_e32 v10, vcc, 0, v14, vcc
	v_add_co_u32_e32 v8, vcc, v9, v8
	v_addc_co_u32_e32 v9, vcc, 0, v10, vcc
	v_add_co_u32_e32 v4, vcc, v4, v8
	v_addc_co_u32_e32 v7, vcc, v7, v9, vcc
	v_mul_lo_u32 v8, s0, v7
	v_mul_hi_u32 v9, s0, v4
	v_mul_lo_u32 v10, s1, v4
	v_mul_lo_u32 v11, s0, v4
	v_add_u32_e32 v8, v9, v8
	v_add_u32_e32 v8, v8, v10
	v_mul_lo_u32 v12, v4, v8
	v_mul_hi_u32 v13, v4, v11
	v_mul_hi_u32 v14, v4, v8
	;; [unrolled: 1-line block ×3, first 2 shown]
	v_mul_lo_u32 v11, v7, v11
	v_mul_hi_u32 v9, v7, v8
	v_add_co_u32_e32 v12, vcc, v13, v12
	v_addc_co_u32_e32 v13, vcc, 0, v14, vcc
	v_mul_lo_u32 v8, v7, v8
	v_add_co_u32_e32 v11, vcc, v12, v11
	v_addc_co_u32_e32 v10, vcc, v13, v10, vcc
	v_addc_co_u32_e32 v9, vcc, 0, v9, vcc
	v_add_co_u32_e32 v8, vcc, v10, v8
	v_addc_co_u32_e32 v9, vcc, 0, v9, vcc
	v_add_co_u32_e32 v4, vcc, v4, v8
	v_addc_co_u32_e32 v9, vcc, v7, v9, vcc
	v_mad_u64_u32 v[7:8], s[0:1], v5, v9, 0
	v_mul_hi_u32 v10, v5, v4
	v_add_co_u32_e32 v11, vcc, v10, v7
	v_addc_co_u32_e32 v12, vcc, 0, v8, vcc
	v_mad_u64_u32 v[7:8], s[0:1], v6, v4, 0
	v_mad_u64_u32 v[9:10], s[0:1], v6, v9, 0
	v_add_co_u32_e32 v4, vcc, v11, v7
	v_addc_co_u32_e32 v4, vcc, v12, v8, vcc
	v_addc_co_u32_e32 v7, vcc, 0, v10, vcc
	v_add_co_u32_e32 v4, vcc, v4, v9
	v_addc_co_u32_e32 v9, vcc, 0, v7, vcc
	v_mul_lo_u32 v10, s19, v4
	v_mul_lo_u32 v11, s18, v9
	v_mad_u64_u32 v[7:8], s[0:1], s18, v4, 0
	v_add3_u32 v8, v8, v11, v10
	v_sub_u32_e32 v10, v6, v8
	v_mov_b32_e32 v11, s19
	v_sub_co_u32_e32 v7, vcc, v5, v7
	v_subb_co_u32_e64 v10, s[0:1], v10, v11, vcc
	v_subrev_co_u32_e64 v11, s[0:1], s18, v7
	v_subbrev_co_u32_e64 v10, s[0:1], 0, v10, s[0:1]
	v_cmp_le_u32_e64 s[0:1], s19, v10
	v_cndmask_b32_e64 v12, 0, -1, s[0:1]
	v_cmp_le_u32_e64 s[0:1], s18, v11
	v_cndmask_b32_e64 v11, 0, -1, s[0:1]
	v_cmp_eq_u32_e64 s[0:1], s19, v10
	v_cndmask_b32_e64 v10, v12, v11, s[0:1]
	v_add_co_u32_e64 v11, s[0:1], 2, v4
	v_addc_co_u32_e64 v12, s[0:1], 0, v9, s[0:1]
	v_add_co_u32_e64 v13, s[0:1], 1, v4
	v_addc_co_u32_e64 v14, s[0:1], 0, v9, s[0:1]
	v_subb_co_u32_e32 v8, vcc, v6, v8, vcc
	v_cmp_ne_u32_e64 s[0:1], 0, v10
	v_cmp_le_u32_e32 vcc, s19, v8
	v_cndmask_b32_e64 v10, v14, v12, s[0:1]
	v_cndmask_b32_e64 v12, 0, -1, vcc
	v_cmp_le_u32_e32 vcc, s18, v7
	v_cndmask_b32_e64 v7, 0, -1, vcc
	v_cmp_eq_u32_e32 vcc, s19, v8
	v_cndmask_b32_e32 v7, v12, v7, vcc
	v_cmp_ne_u32_e32 vcc, 0, v7
	v_cndmask_b32_e64 v7, v13, v11, s[0:1]
	v_cndmask_b32_e32 v8, v9, v10, vcc
	v_cndmask_b32_e32 v7, v4, v7, vcc
.LBB0_4:                                ;   in Loop: Header=BB0_2 Depth=1
	s_andn2_saveexec_b64 s[0:1], s[20:21]
	s_cbranch_execz .LBB0_6
; %bb.5:                                ;   in Loop: Header=BB0_2 Depth=1
	v_cvt_f32_u32_e32 v4, s18
	s_sub_i32 s20, 0, s18
	v_rcp_iflag_f32_e32 v4, v4
	v_mul_f32_e32 v4, 0x4f7ffffe, v4
	v_cvt_u32_f32_e32 v4, v4
	v_mul_lo_u32 v7, s20, v4
	v_mul_hi_u32 v7, v4, v7
	v_add_u32_e32 v4, v4, v7
	v_mul_hi_u32 v4, v5, v4
	v_mul_lo_u32 v7, v4, s18
	v_add_u32_e32 v8, 1, v4
	v_sub_u32_e32 v7, v5, v7
	v_subrev_u32_e32 v9, s18, v7
	v_cmp_le_u32_e32 vcc, s18, v7
	v_cndmask_b32_e32 v7, v7, v9, vcc
	v_cndmask_b32_e32 v4, v4, v8, vcc
	v_add_u32_e32 v8, 1, v4
	v_cmp_le_u32_e32 vcc, s18, v7
	v_cndmask_b32_e32 v7, v4, v8, vcc
	v_mov_b32_e32 v8, v3
.LBB0_6:                                ;   in Loop: Header=BB0_2 Depth=1
	s_or_b64 exec, exec, s[0:1]
	v_mul_lo_u32 v4, v8, s18
	v_mul_lo_u32 v11, v7, s19
	v_mad_u64_u32 v[9:10], s[0:1], v7, s18, 0
	s_load_dwordx2 s[0:1], s[6:7], 0x0
	s_add_u32 s16, s16, 1
	v_add3_u32 v4, v10, v11, v4
	v_sub_co_u32_e32 v5, vcc, v5, v9
	v_subb_co_u32_e32 v4, vcc, v6, v4, vcc
	s_waitcnt lgkmcnt(0)
	v_mul_lo_u32 v4, s0, v4
	v_mul_lo_u32 v6, s1, v5
	v_mad_u64_u32 v[1:2], s[0:1], s0, v5, v[1:2]
	s_addc_u32 s17, s17, 0
	s_add_u32 s6, s6, 8
	v_add3_u32 v2, v6, v2, v4
	v_mov_b32_e32 v4, s10
	v_mov_b32_e32 v5, s11
	s_addc_u32 s7, s7, 0
	v_cmp_ge_u64_e32 vcc, s[16:17], v[4:5]
	s_add_u32 s14, s14, 8
	s_addc_u32 s15, s15, 0
	s_cbranch_vccnz .LBB0_9
; %bb.7:                                ;   in Loop: Header=BB0_2 Depth=1
	v_mov_b32_e32 v5, v7
	v_mov_b32_e32 v6, v8
	s_branch .LBB0_2
.LBB0_8:
	v_mov_b32_e32 v8, v6
	v_mov_b32_e32 v7, v5
.LBB0_9:
	s_lshl_b64 s[0:1], s[10:11], 3
	s_add_u32 s0, s12, s0
	s_addc_u32 s1, s13, s1
	s_load_dwordx2 s[6:7], s[0:1], 0x0
	s_load_dwordx2 s[10:11], s[4:5], 0x20
                                        ; implicit-def: $vgpr20
                                        ; implicit-def: $vgpr34
                                        ; implicit-def: $vgpr23
                                        ; implicit-def: $vgpr25
                                        ; implicit-def: $vgpr27
                                        ; implicit-def: $vgpr29
                                        ; implicit-def: $vgpr31
                                        ; implicit-def: $vgpr33
                                        ; implicit-def: $vgpr22
	s_waitcnt lgkmcnt(0)
	v_mad_u64_u32 v[1:2], s[0:1], s6, v7, v[1:2]
	s_mov_b32 s0, 0x2d82d83
	v_mul_lo_u32 v3, s6, v8
	v_mul_lo_u32 v4, s7, v7
	v_mul_hi_u32 v5, v0, s0
	v_cmp_gt_u64_e32 vcc, s[10:11], v[7:8]
	v_cmp_le_u64_e64 s[0:1], s[10:11], v[7:8]
	v_add3_u32 v2, v4, v2, v3
	v_mul_u32_u24_e32 v3, 0x5a, v5
	v_sub_u32_e32 v16, v0, v3
	s_and_saveexec_b64 s[4:5], s[0:1]
	s_xor_b64 s[0:1], exec, s[4:5]
; %bb.10:
	v_add_u32_e32 v20, 0x5a, v16
	v_add_u32_e32 v34, 0xb4, v16
	;; [unrolled: 1-line block ×9, first 2 shown]
; %bb.11:
	s_or_saveexec_b64 s[4:5], s[0:1]
	v_lshlrev_b64 v[18:19], 2, v[1:2]
	s_xor_b64 exec, exec, s[4:5]
	s_cbranch_execz .LBB0_13
; %bb.12:
	v_mov_b32_e32 v17, 0
	v_mov_b32_e32 v0, s3
	v_add_co_u32_e64 v2, s[0:1], s2, v18
	v_addc_co_u32_e64 v3, s[0:1], v0, v19, s[0:1]
	v_lshlrev_b64 v[0:1], 2, v[16:17]
	s_movk_i32 s6, 0x2000
	v_add_co_u32_e64 v0, s[0:1], v2, v0
	v_addc_co_u32_e64 v1, s[0:1], v3, v1, s[0:1]
	s_movk_i32 s0, 0x1000
	v_add_co_u32_e64 v2, s[0:1], s0, v0
	v_addc_co_u32_e64 v3, s[0:1], 0, v1, s[0:1]
	global_load_dword v4, v[0:1], off
	global_load_dword v5, v[0:1], off offset:1080
	global_load_dword v6, v[0:1], off offset:1440
	;; [unrolled: 1-line block ×15, first 2 shown]
	v_add_co_u32_e64 v0, s[0:1], s6, v0
	v_addc_co_u32_e64 v1, s[0:1], 0, v1, s[0:1]
	global_load_dword v28, v[2:3], off offset:1664
	global_load_dword v30, v[2:3], off offset:2024
	;; [unrolled: 1-line block ×14, first 2 shown]
	v_lshl_add_u32 v0, v16, 2, 0
	v_add_u32_e32 v1, 0x200, v0
	v_add_u32_e32 v20, 0x5a, v16
	;; [unrolled: 1-line block ×21, first 2 shown]
	s_waitcnt vmcnt(23)
	ds_write2_b32 v1, v10, v5 offset0:52 offset1:142
	ds_write2_b32 v2, v6, v7 offset0:104 offset1:194
	s_waitcnt vmcnt(22)
	ds_write2_b32 v0, v4, v11 offset1:90
	ds_write2_b32 v3, v8, v9 offset0:28 offset1:118
	s_waitcnt vmcnt(20)
	ds_write2_b32 v46, v12, v13 offset0:80 offset1:170
	s_waitcnt vmcnt(18)
	;; [unrolled: 2-line block ×9, first 2 shown]
	ds_write2_b32 v54, v40, v41 offset0:112 offset1:202
	v_add_u32_e32 v1, 0x2400, v0
	v_add_u32_e32 v0, 0x2600, v0
	s_waitcnt vmcnt(2)
	ds_write2_b32 v1, v42, v43 offset0:36 offset1:126
	s_waitcnt vmcnt(0)
	ds_write2_b32 v0, v44, v45 offset0:88 offset1:178
.LBB0_13:
	s_or_b64 exec, exec, s[4:5]
	v_lshlrev_b32_e32 v17, 2, v16
	v_add_u32_e32 v36, 0, v17
	v_add_u32_e32 v0, 0xa00, v36
	;; [unrolled: 1-line block ×4, first 2 shown]
	s_waitcnt lgkmcnt(0)
	s_barrier
	ds_read2_b32 v[0:1], v0 offset0:80 offset1:170
	ds_read2_b32 v[2:3], v24 offset0:84 offset1:174
	;; [unrolled: 1-line block ×3, first 2 shown]
	v_add_u32_e32 v51, 0x800, v36
	v_add_u32_e32 v26, 0x2400, v36
	;; [unrolled: 1-line block ×3, first 2 shown]
	s_waitcnt lgkmcnt(1)
	v_pk_add_f16 v10, v1, v3
	v_pk_add_f16 v11, v0, v2
	s_waitcnt lgkmcnt(0)
	v_pk_add_f16 v37, v2, v4
	v_pk_add_f16 v41, v2, v4 neg_lo:[0,1] neg_hi:[0,1]
	v_pk_add_f16 v42, v3, v5
	v_pk_add_f16 v43, v3, v5 neg_lo:[0,1] neg_hi:[0,1]
	ds_read2_b32 v[2:3], v51 offset0:28 offset1:118
	ds_read2_b32 v[6:7], v28 offset0:160 offset1:250
	;; [unrolled: 1-line block ×3, first 2 shown]
	v_add_u32_e32 v52, 0x400, v36
	v_add_u32_e32 v30, 0x2000, v36
	v_pk_add_f16 v44, v10, v5
	v_pk_add_f16 v45, v11, v4
	s_waitcnt lgkmcnt(1)
	v_pk_add_f16 v12, v3, v7
	v_pk_add_f16 v13, v2, v6
	s_waitcnt lgkmcnt(0)
	v_pk_add_f16 v38, v6, v8
	v_pk_add_f16 v46, v6, v8 neg_lo:[0,1] neg_hi:[0,1]
	v_pk_add_f16 v47, v7, v9
	v_pk_add_f16 v50, v7, v9 neg_lo:[0,1] neg_hi:[0,1]
	v_add_u32_e32 v32, 0x1200, v36
	ds_read2_b32 v[4:5], v52 offset0:104 offset1:194
	ds_read2_b32 v[6:7], v32 offset0:108 offset1:198
	;; [unrolled: 1-line block ×3, first 2 shown]
	v_add_u32_e32 v40, 0x1000, v36
	v_add_u32_e32 v35, 0x1e00, v36
	v_pk_add_f16 v53, v12, v9
	s_waitcnt lgkmcnt(1)
	v_pk_add_f16 v15, v4, v6
	s_waitcnt lgkmcnt(0)
	v_pk_add_f16 v55, v6, v10
	v_pk_add_f16 v56, v6, v10 neg_lo:[0,1] neg_hi:[0,1]
	v_add_u32_e32 v6, 0x200, v36
	v_pk_add_f16 v54, v13, v8
	v_pk_add_f16 v14, v5, v7
	;; [unrolled: 1-line block ×3, first 2 shown]
	v_pk_add_f16 v58, v7, v11 neg_lo:[0,1] neg_hi:[0,1]
	ds_read2_b32 v[6:7], v6 offset0:52 offset1:142
	ds_read2_b32 v[8:9], v40 offset0:56 offset1:146
	;; [unrolled: 1-line block ×3, first 2 shown]
	v_add_u32_e32 v48, 0x1c00, v36
	v_pk_add_f16 v59, v14, v11
	v_pk_add_f16 v60, v15, v10
	s_waitcnt lgkmcnt(1)
	v_pk_add_f16 v39, v7, v9
	v_pk_add_f16 v61, v6, v8
	s_waitcnt lgkmcnt(0)
	v_pk_add_f16 v62, v8, v12
	v_pk_add_f16 v63, v8, v12 neg_lo:[0,1] neg_hi:[0,1]
	v_pk_add_f16 v64, v9, v13
	v_pk_add_f16 v65, v9, v13 neg_lo:[0,1] neg_hi:[0,1]
	v_add_u32_e32 v49, 0xc00, v36
	ds_read2_b32 v[8:9], v36 offset1:90
	ds_read2_b32 v[10:11], v49 offset0:132 offset1:222
	ds_read2_b32 v[14:15], v48 offset0:8 offset1:98
	v_pk_add_f16 v12, v61, v12
	s_movk_i32 s4, 0x3aee
	v_pk_add_f16 v13, v39, v13
	s_waitcnt lgkmcnt(1)
	v_pk_add_f16 v61, v8, v10
	s_waitcnt lgkmcnt(0)
	v_pk_add_f16 v66, v10, v14
	v_pk_add_f16 v10, v10, v14 neg_lo:[0,1] neg_hi:[0,1]
	v_pk_add_f16 v39, v9, v11
	v_pk_fma_f16 v8, v66, 0.5, v8 op_sel_hi:[1,0,1] neg_lo:[1,0,0] neg_hi:[1,0,0]
	v_pk_mul_f16 v10, v10, s4 op_sel_hi:[1,0]
	v_pk_add_f16 v67, v11, v15
	v_pk_add_f16 v11, v11, v15 neg_lo:[0,1] neg_hi:[0,1]
	v_pk_add_f16 v15, v39, v15
	v_pk_add_f16 v39, v8, v10 op_sel:[0,1] op_sel_hi:[1,0]
	v_pk_add_f16 v8, v8, v10 op_sel:[0,1] op_sel_hi:[1,0] neg_lo:[0,1] neg_hi:[0,1]
	s_mov_b32 s0, 0xffff
	v_pk_add_f16 v14, v61, v14
	v_mad_u32_u24 v10, v16, 12, 0
	v_bfi_b32 v61, s0, v39, v8
	v_bfi_b32 v8, s0, v8, v39
	s_barrier
	ds_write_b32 v10, v8 offset:8
	v_pk_fma_f16 v8, v67, 0.5, v9 op_sel_hi:[1,0,1] neg_lo:[1,0,0] neg_hi:[1,0,0]
	v_pk_mul_f16 v9, v11, s4 op_sel_hi:[1,0]
	ds_write2_b32 v10, v14, v61 offset1:1
	v_pk_add_f16 v10, v8, v9 op_sel:[0,1] op_sel_hi:[1,0]
	v_pk_add_f16 v8, v8, v9 op_sel:[0,1] op_sel_hi:[1,0] neg_lo:[0,1] neg_hi:[0,1]
	v_mad_i32_i24 v9, v20, 12, 0
	v_bfi_b32 v11, s0, v10, v8
	v_bfi_b32 v8, s0, v8, v10
	ds_write_b32 v9, v8 offset:8
	v_pk_fma_f16 v6, v62, 0.5, v6 op_sel_hi:[1,0,1] neg_lo:[1,0,0] neg_hi:[1,0,0]
	v_pk_mul_f16 v8, v63, s4 op_sel_hi:[1,0]
	ds_write2_b32 v9, v15, v11 offset1:1
	v_pk_add_f16 v9, v6, v8 op_sel:[0,1] op_sel_hi:[1,0]
	v_pk_add_f16 v6, v6, v8 op_sel:[0,1] op_sel_hi:[1,0] neg_lo:[0,1] neg_hi:[0,1]
	v_mad_i32_i24 v8, v34, 12, 0
	v_bfi_b32 v10, s0, v9, v6
	v_bfi_b32 v6, s0, v6, v9
	;; [unrolled: 9-line block ×6, first 2 shown]
	v_pk_fma_f16 v3, v47, 0.5, v3 op_sel_hi:[1,0,1] neg_lo:[1,0,0] neg_hi:[1,0,0]
	ds_write_b32 v38, v2 offset:8
	v_pk_mul_f16 v2, v50, s4 op_sel_hi:[1,0]
	ds_write2_b32 v38, v54, v4 offset1:1
	v_pk_add_f16 v4, v3, v2 op_sel:[0,1] op_sel_hi:[1,0]
	v_pk_add_f16 v2, v3, v2 op_sel:[0,1] op_sel_hi:[1,0] neg_lo:[0,1] neg_hi:[0,1]
	v_mad_i32_i24 v3, v31, 12, 0
	v_bfi_b32 v5, s0, v4, v2
	v_bfi_b32 v2, s0, v2, v4
	ds_write_b32 v3, v2 offset:8
	v_pk_fma_f16 v0, v37, 0.5, v0 op_sel_hi:[1,0,1] neg_lo:[1,0,0] neg_hi:[1,0,0]
	v_pk_mul_f16 v2, v41, s4 op_sel_hi:[1,0]
	ds_write2_b32 v3, v53, v5 offset1:1
	v_pk_add_f16 v3, v0, v2 op_sel:[0,1] op_sel_hi:[1,0]
	v_pk_add_f16 v0, v0, v2 op_sel:[0,1] op_sel_hi:[1,0] neg_lo:[0,1] neg_hi:[0,1]
	v_mad_i32_i24 v2, v33, 12, 0
	v_bfi_b32 v4, s0, v3, v0
	v_bfi_b32 v0, s0, v0, v3
	ds_write_b32 v2, v0 offset:8
	v_pk_fma_f16 v0, v42, 0.5, v1 op_sel_hi:[1,0,1] neg_lo:[1,0,0] neg_hi:[1,0,0]
	v_pk_mul_f16 v1, v43, s4 op_sel_hi:[1,0]
	ds_write2_b32 v2, v45, v4 offset1:1
	v_pk_add_f16 v2, v0, v1 op_sel:[0,1] op_sel_hi:[1,0]
	v_pk_add_f16 v0, v0, v1 op_sel:[0,1] op_sel_hi:[1,0] neg_lo:[0,1] neg_hi:[0,1]
	v_mad_i32_i24 v37, v22, 12, 0
	v_bfi_b32 v1, s0, v2, v0
	v_bfi_b32 v0, s0, v0, v2
	s_movk_i32 s0, 0xab
	ds_write_b32 v37, v0 offset:8
	v_mul_lo_u16_sdwa v0, v16, s0 dst_sel:DWORD dst_unused:UNUSED_PAD src0_sel:BYTE_0 src1_sel:DWORD
	v_lshrrev_b16_e32 v53, 9, v0
	v_mul_lo_u16_e32 v0, 3, v53
	v_sub_u16_e32 v50, v16, v0
	v_mov_b32_e32 v54, 9
	v_mul_u32_u24_sdwa v0, v50, v54 dst_sel:DWORD dst_unused:UNUSED_PAD src0_sel:BYTE_0 src1_sel:DWORD
	v_lshlrev_b32_e32 v60, 2, v0
	ds_write2_b32 v37, v44, v1 offset1:1
	s_waitcnt lgkmcnt(0)
	s_barrier
	global_load_dwordx4 v[0:3], v60, s[8:9]
	v_mul_lo_u16_sdwa v4, v20, s0 dst_sel:DWORD dst_unused:UNUSED_PAD src0_sel:BYTE_0 src1_sel:DWORD
	v_lshrrev_b16_e32 v57, 9, v4
	v_mul_lo_u16_e32 v4, 3, v57
	v_sub_u16_e32 v58, v20, v4
	v_mul_u32_u24_sdwa v4, v58, v54 dst_sel:DWORD dst_unused:UNUSED_PAD src0_sel:BYTE_0 src1_sel:DWORD
	v_lshlrev_b32_e32 v61, 2, v4
	global_load_dwordx4 v[4:7], v61, s[8:9]
	global_load_dwordx4 v[12:15], v60, s[8:9] offset:16
	s_mov_b32 s0, 0xaaab
	v_mul_u32_u24_sdwa v8, v34, s0 dst_sel:DWORD dst_unused:UNUSED_PAD src0_sel:WORD_0 src1_sel:DWORD
	v_lshrrev_b32_e32 v55, 17, v8
	v_mul_lo_u16_e32 v8, 3, v55
	v_sub_u16_e32 v56, v34, v8
	v_mul_u32_u24_e32 v8, 9, v56
	v_lshlrev_b32_e32 v59, 2, v8
	global_load_dwordx4 v[8:11], v59, s[8:9]
	v_lshlrev_b32_e32 v41, 3, v23
	v_sub_u32_e32 v46, v39, v41
	v_lshlrev_b32_e32 v43, 3, v29
	v_lshlrev_b32_e32 v42, 3, v22
	v_sub_u32_e32 v45, v38, v43
	v_sub_u32_e32 v44, v37, v42
	ds_read_b32 v64, v46
	ds_read_b32 v63, v45
	;; [unrolled: 1-line block ×3, first 2 shown]
	global_load_dword v60, v60, s[8:9] offset:32
	s_mov_b32 s7, 0xbb9c
	s_waitcnt lgkmcnt(2)
	v_lshrrev_b32_e32 v66, 16, v64
	s_movk_i32 s5, 0x3b9c
	s_mov_b32 s1, 0xb8b4
	s_movk_i32 s0, 0x38b4
	s_movk_i32 s6, 0x34f2
	;; [unrolled: 1-line block ×3, first 2 shown]
	v_lshl_add_u32 v47, v34, 2, 0
	ds_read_b32 v65, v47
	v_mul_u32_u24_e32 v57, 0x78, v57
	v_mul_u32_u24_e32 v55, 0x78, v55
	v_lshlrev_b32_e32 v56, 2, v56
	v_add3_u32 v55, 0, v55, v56
	s_movk_i32 s11, 0x89
	s_waitcnt vmcnt(4)
	v_mul_f16_sdwa v67, v0, v66 dst_sel:DWORD dst_unused:UNUSED_PAD src0_sel:WORD_1 src1_sel:DWORD
	v_fma_f16 v74, v0, v64, -v67
	v_mul_f16_sdwa v64, v0, v64 dst_sel:DWORD dst_unused:UNUSED_PAD src0_sel:WORD_1 src1_sel:DWORD
	v_fma_f16 v64, v0, v66, v64
	s_waitcnt lgkmcnt(2)
	v_lshrrev_b32_e32 v0, 16, v63
	v_mul_f16_sdwa v66, v0, v1 dst_sel:DWORD dst_unused:UNUSED_PAD src0_sel:DWORD src1_sel:WORD_1
	v_fma_f16 v75, v63, v1, -v66
	global_load_dwordx4 v[66:69], v61, s[8:9] offset:16
	v_mul_f16_sdwa v63, v63, v1 dst_sel:DWORD dst_unused:UNUSED_PAD src0_sel:DWORD src1_sel:WORD_1
	v_fma_f16 v76, v0, v1, v63
	s_waitcnt lgkmcnt(1)
	v_lshrrev_b32_e32 v63, 16, v62
	v_mul_f16_sdwa v70, v63, v2 dst_sel:DWORD dst_unused:UNUSED_PAD src0_sel:DWORD src1_sel:WORD_1
	v_fma_f16 v77, v62, v2, -v70
	global_load_dwordx4 v[70:73], v59, s[8:9] offset:16
	ds_read2_b32 v[0:1], v40 offset0:56 offset1:146
	global_load_dword v59, v59, s[8:9] offset:32
	v_mul_f16_sdwa v62, v62, v2 dst_sel:DWORD dst_unused:UNUSED_PAD src0_sel:DWORD src1_sel:WORD_1
	v_fma_f16 v78, v63, v2, v62
	global_load_dword v61, v61, s[8:9] offset:32
	s_waitcnt lgkmcnt(0)
	v_lshrrev_b32_e32 v2, 16, v0
	v_mul_f16_sdwa v62, v0, v3 dst_sel:DWORD dst_unused:UNUSED_PAD src0_sel:DWORD src1_sel:WORD_1
	v_fma_f16 v79, v2, v3, v62
	v_mul_f16_sdwa v2, v2, v3 dst_sel:DWORD dst_unused:UNUSED_PAD src0_sel:DWORD src1_sel:WORD_1
	v_fma_f16 v80, v0, v3, -v2
	ds_read2_b32 v[2:3], v52 offset0:104 offset1:194
	v_lshrrev_b32_e32 v0, 16, v1
	s_waitcnt vmcnt(7)
	v_mul_f16_sdwa v62, v0, v7 dst_sel:DWORD dst_unused:UNUSED_PAD src0_sel:DWORD src1_sel:WORD_1
	v_fma_f16 v81, v1, v7, -v62
	v_mul_f16_sdwa v1, v1, v7 dst_sel:DWORD dst_unused:UNUSED_PAD src0_sel:DWORD src1_sel:WORD_1
	v_fma_f16 v82, v0, v7, v1
	s_waitcnt lgkmcnt(0)
	v_lshrrev_b32_e32 v0, 16, v2
	ds_read2_b32 v[62:63], v51 offset0:118 offset1:208
	v_mul_f16_sdwa v1, v2, v4 dst_sel:DWORD dst_unused:UNUSED_PAD src0_sel:DWORD src1_sel:WORD_1
	v_fma_f16 v83, v0, v4, v1
	v_mul_f16_sdwa v0, v0, v4 dst_sel:DWORD dst_unused:UNUSED_PAD src0_sel:DWORD src1_sel:WORD_1
	v_fma_f16 v84, v2, v4, -v0
	ds_read2_b32 v[1:2], v49 offset0:132 offset1:222
	s_waitcnt lgkmcnt(1)
	v_lshrrev_b32_e32 v0, 16, v62
	v_mul_f16_sdwa v4, v62, v5 dst_sel:DWORD dst_unused:UNUSED_PAD src0_sel:DWORD src1_sel:WORD_1
	v_fma_f16 v85, v0, v5, v4
	v_mul_f16_sdwa v0, v0, v5 dst_sel:DWORD dst_unused:UNUSED_PAD src0_sel:DWORD src1_sel:WORD_1
	v_fma_f16 v62, v62, v5, -v0
	s_waitcnt lgkmcnt(0)
	v_lshrrev_b32_e32 v0, 16, v1
	v_mul_f16_sdwa v4, v1, v6 dst_sel:DWORD dst_unused:UNUSED_PAD src0_sel:DWORD src1_sel:WORD_1
	v_fma_f16 v86, v0, v6, v4
	v_mul_f16_sdwa v0, v0, v6 dst_sel:DWORD dst_unused:UNUSED_PAD src0_sel:DWORD src1_sel:WORD_1
	v_fma_f16 v87, v1, v6, -v0
	v_lshrrev_b32_e32 v0, 16, v3
	s_waitcnt vmcnt(5)
	v_mul_f16_sdwa v1, v0, v8 dst_sel:DWORD dst_unused:UNUSED_PAD src0_sel:DWORD src1_sel:WORD_1
	v_fma_f16 v1, v3, v8, -v1
	v_mul_f16_sdwa v3, v3, v8 dst_sel:DWORD dst_unused:UNUSED_PAD src0_sel:DWORD src1_sel:WORD_1
	v_fma_f16 v0, v0, v8, v3
	v_lshrrev_b32_e32 v3, 16, v63
	ds_read2_b32 v[7:8], v32 offset0:108 offset1:198
	v_mul_f16_sdwa v4, v3, v9 dst_sel:DWORD dst_unused:UNUSED_PAD src0_sel:DWORD src1_sel:WORD_1
	v_fma_f16 v5, v63, v9, -v4
	v_mul_f16_sdwa v4, v63, v9 dst_sel:DWORD dst_unused:UNUSED_PAD src0_sel:DWORD src1_sel:WORD_1
	v_lshrrev_b32_e32 v6, 16, v2
	v_fma_f16 v4, v3, v9, v4
	v_mul_f16_sdwa v3, v6, v10 dst_sel:DWORD dst_unused:UNUSED_PAD src0_sel:DWORD src1_sel:WORD_1
	v_fma_f16 v3, v2, v10, -v3
	v_mul_f16_sdwa v2, v2, v10 dst_sel:DWORD dst_unused:UNUSED_PAD src0_sel:DWORD src1_sel:WORD_1
	v_fma_f16 v2, v6, v10, v2
	s_waitcnt lgkmcnt(0)
	v_lshrrev_b32_e32 v9, 16, v7
	v_mul_f16_sdwa v6, v7, v11 dst_sel:DWORD dst_unused:UNUSED_PAD src0_sel:DWORD src1_sel:WORD_1
	v_fma_f16 v6, v9, v11, v6
	v_mul_f16_sdwa v9, v9, v11 dst_sel:DWORD dst_unused:UNUSED_PAD src0_sel:DWORD src1_sel:WORD_1
	v_fma_f16 v63, v7, v11, -v9
	ds_read2_b32 v[9:10], v24 offset0:84 offset1:174
	v_lshrrev_b32_e32 v7, 16, v8
	v_mul_f16_sdwa v11, v7, v12 dst_sel:DWORD dst_unused:UNUSED_PAD src0_sel:DWORD src1_sel:WORD_1
	v_fma_f16 v88, v8, v12, -v11
	v_mul_f16_sdwa v8, v8, v12 dst_sel:DWORD dst_unused:UNUSED_PAD src0_sel:DWORD src1_sel:WORD_1
	v_fma_f16 v89, v7, v12, v8
	s_waitcnt lgkmcnt(0)
	v_lshrrev_b32_e32 v11, 16, v9
	ds_read2_b32 v[7:8], v48 offset0:8 offset1:98
	v_mul_f16_sdwa v12, v9, v13 dst_sel:DWORD dst_unused:UNUSED_PAD src0_sel:DWORD src1_sel:WORD_1
	v_fma_f16 v90, v11, v13, v12
	v_mul_f16_sdwa v11, v11, v13 dst_sel:DWORD dst_unused:UNUSED_PAD src0_sel:DWORD src1_sel:WORD_1
	v_fma_f16 v13, v9, v13, -v11
	ds_read2_b32 v[11:12], v30 offset0:112 offset1:202
	s_waitcnt lgkmcnt(1)
	v_lshrrev_b32_e32 v9, 16, v8
	v_mul_f16_sdwa v91, v8, v14 dst_sel:DWORD dst_unused:UNUSED_PAD src0_sel:DWORD src1_sel:WORD_1
	v_fma_f16 v91, v9, v14, v91
	v_mul_f16_sdwa v9, v9, v14 dst_sel:DWORD dst_unused:UNUSED_PAD src0_sel:DWORD src1_sel:WORD_1
	v_fma_f16 v14, v8, v14, -v9
	s_waitcnt lgkmcnt(0)
	v_lshrrev_b32_e32 v8, 16, v11
	v_mul_f16_sdwa v9, v11, v15 dst_sel:DWORD dst_unused:UNUSED_PAD src0_sel:DWORD src1_sel:WORD_1
	v_fma_f16 v92, v8, v15, v9
	v_mul_f16_sdwa v8, v8, v15 dst_sel:DWORD dst_unused:UNUSED_PAD src0_sel:DWORD src1_sel:WORD_1
	v_fma_f16 v15, v11, v15, -v8
	v_lshrrev_b32_e32 v8, 16, v10
	s_waitcnt vmcnt(3)
	v_mul_f16_sdwa v9, v8, v67 dst_sel:DWORD dst_unused:UNUSED_PAD src0_sel:DWORD src1_sel:WORD_1
	v_fma_f16 v93, v10, v67, -v9
	v_mul_f16_sdwa v9, v10, v67 dst_sel:DWORD dst_unused:UNUSED_PAD src0_sel:DWORD src1_sel:WORD_1
	v_lshrrev_b32_e32 v10, 16, v12
	v_fma_f16 v67, v8, v67, v9
	ds_read2_b32 v[8:9], v28 offset0:160 offset1:250
	v_mul_f16_sdwa v11, v10, v69 dst_sel:DWORD dst_unused:UNUSED_PAD src0_sel:DWORD src1_sel:WORD_1
	v_fma_f16 v94, v12, v69, -v11
	v_mul_f16_sdwa v11, v12, v69 dst_sel:DWORD dst_unused:UNUSED_PAD src0_sel:DWORD src1_sel:WORD_1
	v_fma_f16 v12, v10, v69, v11
	ds_read2_b32 v[10:11], v35 offset0:60 offset1:150
	s_waitcnt lgkmcnt(1)
	v_lshrrev_b32_e32 v69, 16, v8
	v_mul_f16_sdwa v95, v8, v66 dst_sel:DWORD dst_unused:UNUSED_PAD src0_sel:DWORD src1_sel:WORD_1
	v_fma_f16 v95, v69, v66, v95
	v_mul_f16_sdwa v69, v69, v66 dst_sel:DWORD dst_unused:UNUSED_PAD src0_sel:DWORD src1_sel:WORD_1
	v_fma_f16 v66, v8, v66, -v69
	s_waitcnt lgkmcnt(0)
	v_lshrrev_b32_e32 v8, 16, v10
	v_mul_f16_sdwa v69, v10, v68 dst_sel:DWORD dst_unused:UNUSED_PAD src0_sel:DWORD src1_sel:WORD_1
	v_fma_f16 v69, v8, v68, v69
	v_mul_f16_sdwa v8, v8, v68 dst_sel:DWORD dst_unused:UNUSED_PAD src0_sel:DWORD src1_sel:WORD_1
	v_fma_f16 v10, v10, v68, -v8
	v_lshrrev_b32_e32 v8, 16, v9
	s_waitcnt vmcnt(2)
	v_mul_f16_sdwa v68, v8, v70 dst_sel:DWORD dst_unused:UNUSED_PAD src0_sel:DWORD src1_sel:WORD_1
	v_fma_f16 v68, v9, v70, -v68
	v_mul_f16_sdwa v9, v9, v70 dst_sel:DWORD dst_unused:UNUSED_PAD src0_sel:DWORD src1_sel:WORD_1
	v_fma_f16 v9, v8, v70, v9
	v_lshrrev_b32_e32 v8, 16, v7
	v_mul_f16_sdwa v70, v8, v71 dst_sel:DWORD dst_unused:UNUSED_PAD src0_sel:DWORD src1_sel:WORD_1
	v_fma_f16 v70, v7, v71, -v70
	v_mul_f16_sdwa v7, v7, v71 dst_sel:DWORD dst_unused:UNUSED_PAD src0_sel:DWORD src1_sel:WORD_1
	v_fma_f16 v71, v8, v71, v7
	ds_read2_b32 v[7:8], v26 offset0:36 offset1:126
	v_lshrrev_b32_e32 v96, 16, v11
	v_mul_f16_sdwa v97, v96, v72 dst_sel:DWORD dst_unused:UNUSED_PAD src0_sel:DWORD src1_sel:WORD_1
	v_fma_f16 v97, v11, v72, -v97
	v_mul_f16_sdwa v11, v11, v72 dst_sel:DWORD dst_unused:UNUSED_PAD src0_sel:DWORD src1_sel:WORD_1
	v_fma_f16 v11, v96, v72, v11
	s_waitcnt lgkmcnt(0)
	v_lshrrev_b32_e32 v72, 16, v7
	v_mul_f16_sdwa v96, v7, v73 dst_sel:DWORD dst_unused:UNUSED_PAD src0_sel:DWORD src1_sel:WORD_1
	v_fma_f16 v96, v72, v73, v96
	v_mul_f16_sdwa v72, v72, v73 dst_sel:DWORD dst_unused:UNUSED_PAD src0_sel:DWORD src1_sel:WORD_1
	v_fma_f16 v72, v7, v73, -v72
	v_lshrrev_b32_e32 v7, 16, v8
	v_mul_f16_sdwa v73, v7, v60 dst_sel:DWORD dst_unused:UNUSED_PAD src0_sel:DWORD src1_sel:WORD_1
	v_fma_f16 v73, v8, v60, -v73
	v_mul_f16_sdwa v8, v8, v60 dst_sel:DWORD dst_unused:UNUSED_PAD src0_sel:DWORD src1_sel:WORD_1
	v_fma_f16 v60, v7, v60, v8
	v_sub_f16_e32 v7, v75, v80
	v_sub_f16_e32 v8, v15, v13
	v_add_f16_e32 v98, v7, v8
	v_sub_f16_e32 v7, v76, v79
	v_sub_f16_e32 v8, v92, v90
	v_add_f16_e32 v99, v7, v8
	;; [unrolled: 3-line block ×4, first 2 shown]
	v_add_f16_e32 v8, v89, v91
	v_add_f16_e32 v7, v88, v14
	v_fma_f16 v105, v8, -0.5, v64
	v_sub_f16_e32 v106, v77, v73
	v_fma_f16 v102, v7, -0.5, v74
	v_sub_f16_e32 v103, v78, v60
	v_fma_f16 v8, v106, s7, v105
	v_sub_f16_e32 v107, v88, v14
	v_fma_f16 v7, v103, s5, v102
	v_sub_f16_e32 v104, v89, v91
	v_fma_f16 v8, v107, s1, v8
	v_fma_f16 v7, v104, s0, v7
	v_fma_f16 v8, v101, s6, v8
	;; [unrolled: 1-line block ×3, first 2 shown]
	v_mul_f16_e32 v108, 0x38b4, v8
	v_fma_f16 v108, v7, s10, v108
	v_mul_f16_e32 v7, 0xb8b4, v7
	v_fma_f16 v109, v8, s10, v7
	v_mul_u32_u24_e32 v7, 0x78, v53
	v_mov_b32_e32 v53, 2
	v_lshlrev_b32_sdwa v8, v53, v50 dst_sel:DWORD dst_unused:UNUSED_PAD src0_sel:DWORD src1_sel:BYTE_0
	v_lshl_add_u32 v50, v20, 2, 0
	ds_read_b32 v112, v50
	ds_read_b32 v110, v36
	v_add3_u32 v111, 0, v7, v8
	v_sub_f16_e32 v120, v76, v92
	v_sub_f16_e32 v121, v79, v90
	;; [unrolled: 1-line block ×3, first 2 shown]
	s_waitcnt lgkmcnt(0)
	v_add_f16_e32 v7, v110, v75
	v_add_f16_e32 v7, v7, v80
	;; [unrolled: 1-line block ×3, first 2 shown]
	v_lshrrev_b32_e32 v114, 16, v110
	v_add_f16_e32 v113, v7, v15
	v_add_f16_e32 v7, v114, v76
	;; [unrolled: 1-line block ×15, first 2 shown]
	v_pack_b32_f16 v118, v7, v8
	v_add_f16_e32 v7, v80, v13
	v_fma_f16 v119, v7, -0.5, v110
	v_fma_f16 v7, v120, s5, v119
	v_fma_f16 v7, v121, s0, v7
	;; [unrolled: 1-line block ×3, first 2 shown]
	v_add_f16_e32 v7, v79, v90
	v_fma_f16 v123, v7, -0.5, v114
	v_fma_f16 v7, v124, s7, v123
	v_sub_f16_e32 v125, v80, v13
	v_fma_f16 v7, v125, s1, v7
	v_fma_f16 v126, v99, s6, v7
	v_add_f16_e32 v7, v122, v108
	v_add_f16_e32 v8, v126, v109
	v_pack_b32_f16 v127, v7, v8
	ds_read2_b32 v[7:8], v21 offset0:88 offset1:178
	s_waitcnt vmcnt(0) lgkmcnt(0)
	s_barrier
	ds_write2_b32 v111, v118, v127 offset1:3
	v_add_f16_e32 v118, v75, v15
	v_fma_f16 v110, v118, -0.5, v110
	v_sub_f16_e32 v75, v80, v75
	v_sub_f16_e32 v13, v13, v15
	v_add_f16_e32 v13, v75, v13
	v_fma_f16 v15, v121, s7, v110
	v_fma_f16 v75, v121, s5, v110
	;; [unrolled: 1-line block ×6, first 2 shown]
	v_add_f16_e32 v75, v76, v92
	v_fma_f16 v75, v75, -0.5, v114
	v_sub_f16_e32 v76, v79, v76
	v_sub_f16_e32 v79, v90, v92
	v_add_f16_e32 v76, v76, v79
	v_fma_f16 v79, v125, s5, v75
	v_fma_f16 v75, v125, s7, v75
	;; [unrolled: 1-line block ×6, first 2 shown]
	v_add_f16_e32 v76, v77, v73
	v_fma_f16 v74, v76, -0.5, v74
	v_sub_f16_e32 v76, v88, v77
	v_sub_f16_e32 v14, v14, v73
	v_fma_f16 v73, v104, s7, v74
	v_fma_f16 v74, v104, s5, v74
	v_add_f16_e32 v14, v76, v14
	v_fma_f16 v73, v103, s0, v73
	v_fma_f16 v74, v103, s1, v74
	;; [unrolled: 1-line block ×4, first 2 shown]
	v_add_f16_e32 v74, v78, v60
	v_fma_f16 v64, v74, -0.5, v64
	v_sub_f16_e32 v74, v89, v78
	v_sub_f16_e32 v60, v91, v60
	v_add_f16_e32 v60, v74, v60
	v_fma_f16 v74, v107, s5, v64
	v_fma_f16 v74, v106, s1, v74
	;; [unrolled: 1-line block ×6, first 2 shown]
	v_mul_f16_e32 v64, 0x3b9c, v74
	v_fma_f16 v64, v73, s6, v64
	v_mul_f16_e32 v73, 0xbb9c, v73
	v_fma_f16 v73, v74, s6, v73
	v_mul_f16_e32 v74, 0x34f2, v14
	v_fma_f16 v74, v60, s5, -v74
	v_mul_f16_e32 v60, 0x34f2, v60
	v_fma_f16 v14, v14, s7, -v60
	v_add_f16_e32 v60, v15, v64
	v_add_f16_e32 v76, v79, v73
	v_pack_b32_f16 v60, v60, v76
	v_add_f16_e32 v76, v13, v74
	v_add_f16_e32 v77, v75, v14
	v_pack_b32_f16 v76, v76, v77
	v_fma_f16 v77, v103, s7, v102
	v_fma_f16 v77, v104, s1, v77
	;; [unrolled: 1-line block ×5, first 2 shown]
	ds_write2_b32 v111, v60, v76 offset0:6 offset1:9
	v_fma_f16 v60, v120, s7, v119
	v_fma_f16 v76, v124, s5, v123
	;; [unrolled: 1-line block ×3, first 2 shown]
	v_mul_f16_e32 v80, 0x3a79, v77
	v_fma_f16 v60, v121, s1, v60
	v_fma_f16 v76, v125, s0, v76
	v_fma_f16 v80, v78, s0, -v80
	v_mul_f16_e32 v78, 0x3a79, v78
	v_fma_f16 v60, v98, s6, v60
	v_fma_f16 v76, v99, s6, v76
	v_fma_f16 v77, v77, s1, -v78
	v_sub_f16_e32 v78, v113, v116
	v_sub_f16_e32 v88, v115, v117
	v_add_f16_e32 v89, v60, v80
	v_add_f16_e32 v90, v76, v77
	v_pack_b32_f16 v89, v89, v90
	v_pack_b32_f16 v78, v78, v88
	ds_write2_b32 v111, v89, v78 offset0:12 offset1:15
	v_sub_f16_e32 v78, v122, v108
	v_sub_f16_e32 v15, v15, v64
	;; [unrolled: 1-line block ×4, first 2 shown]
	v_pack_b32_f16 v64, v78, v64
	v_pack_b32_f16 v15, v15, v73
	ds_write2_b32 v111, v64, v15 offset0:18 offset1:21
	v_sub_f16_e32 v13, v13, v74
	v_sub_f16_e32 v15, v60, v80
	;; [unrolled: 1-line block ×4, first 2 shown]
	v_pack_b32_f16 v13, v13, v14
	v_pack_b32_f16 v14, v15, v60
	ds_write2_b32 v111, v13, v14 offset0:24 offset1:27
	v_lshrrev_b32_e32 v13, 16, v7
	v_mul_f16_sdwa v14, v7, v61 dst_sel:DWORD dst_unused:UNUSED_PAD src0_sel:DWORD src1_sel:WORD_1
	v_fma_f16 v14, v13, v61, v14
	v_mul_f16_sdwa v13, v13, v61 dst_sel:DWORD dst_unused:UNUSED_PAD src0_sel:DWORD src1_sel:WORD_1
	v_fma_f16 v7, v7, v61, -v13
	v_sub_f16_e32 v13, v62, v81
	v_sub_f16_e32 v15, v94, v93
	v_add_f16_e32 v13, v13, v15
	v_sub_f16_e32 v15, v85, v82
	v_sub_f16_e32 v60, v12, v67
	v_add_f16_e32 v15, v15, v60
	;; [unrolled: 3-line block ×4, first 2 shown]
	v_add_f16_e32 v61, v61, v64
	v_add_f16_e32 v64, v66, v10
	v_fma_f16 v76, v76, -0.5, v83
	v_sub_f16_e32 v77, v87, v7
	v_fma_f16 v64, v64, -0.5, v84
	v_sub_f16_e32 v73, v86, v14
	v_fma_f16 v78, v77, s7, v76
	v_sub_f16_e32 v79, v66, v10
	v_fma_f16 v74, v73, s5, v64
	;; [unrolled: 2-line block ×3, first 2 shown]
	v_fma_f16 v74, v75, s0, v74
	v_fma_f16 v78, v61, s6, v78
	;; [unrolled: 1-line block ×3, first 2 shown]
	v_mul_f16_e32 v80, 0x38b4, v78
	v_fma_f16 v80, v74, s10, v80
	v_mul_f16_e32 v74, 0xb8b4, v74
	v_fma_f16 v74, v78, s10, v74
	v_lshlrev_b32_sdwa v58, v53, v58 dst_sel:DWORD dst_unused:UNUSED_PAD src0_sel:DWORD src1_sel:BYTE_0
	v_lshrrev_b32_e32 v78, 16, v112
	v_add3_u32 v57, 0, v57, v58
	v_add_f16_e32 v58, v112, v62
	v_add_f16_e32 v88, v78, v85
	;; [unrolled: 1-line block ×18, first 2 shown]
	v_pack_b32_f16 v91, v91, v92
	v_add_f16_e32 v92, v81, v93
	v_add_f16_e32 v101, v82, v67
	v_fma_f16 v92, v92, -0.5, v112
	v_sub_f16_e32 v98, v85, v12
	v_fma_f16 v101, v101, -0.5, v78
	v_sub_f16_e32 v102, v62, v94
	v_fma_f16 v99, v98, s5, v92
	v_sub_f16_e32 v100, v82, v67
	v_fma_f16 v103, v102, s7, v101
	;; [unrolled: 2-line block ×3, first 2 shown]
	v_fma_f16 v103, v104, s1, v103
	v_fma_f16 v99, v13, s6, v99
	;; [unrolled: 1-line block ×3, first 2 shown]
	v_add_f16_e32 v105, v99, v80
	v_add_f16_e32 v106, v103, v74
	v_pack_b32_f16 v105, v105, v106
	ds_write2_b32 v57, v91, v105 offset1:3
	v_add_f16_e32 v91, v62, v94
	v_fma_f16 v91, v91, -0.5, v112
	v_sub_f16_e32 v62, v81, v62
	v_sub_f16_e32 v81, v93, v94
	v_add_f16_e32 v62, v62, v81
	v_fma_f16 v81, v100, s7, v91
	v_fma_f16 v91, v100, s5, v91
	;; [unrolled: 1-line block ×6, first 2 shown]
	v_add_f16_e32 v91, v85, v12
	v_fma_f16 v78, v91, -0.5, v78
	v_sub_f16_e32 v82, v82, v85
	v_sub_f16_e32 v12, v67, v12
	v_fma_f16 v67, v104, s5, v78
	v_fma_f16 v78, v104, s7, v78
	v_add_f16_e32 v12, v82, v12
	v_fma_f16 v67, v102, s1, v67
	v_fma_f16 v78, v102, s0, v78
	;; [unrolled: 1-line block ×4, first 2 shown]
	v_add_f16_e32 v78, v87, v7
	v_fma_f16 v78, v78, -0.5, v84
	v_sub_f16_e32 v66, v66, v87
	v_sub_f16_e32 v7, v10, v7
	v_add_f16_e32 v7, v66, v7
	v_fma_f16 v10, v75, s7, v78
	v_fma_f16 v66, v75, s5, v78
	;; [unrolled: 1-line block ×6, first 2 shown]
	v_add_f16_e32 v66, v86, v14
	v_fma_f16 v66, v66, -0.5, v83
	v_sub_f16_e32 v78, v95, v86
	v_sub_f16_e32 v14, v69, v14
	v_fma_f16 v69, v79, s5, v66
	v_add_f16_e32 v14, v78, v14
	v_fma_f16 v69, v77, s1, v69
	v_fma_f16 v66, v79, s7, v66
	;; [unrolled: 1-line block ×5, first 2 shown]
	v_mul_f16_e32 v66, 0x3b9c, v69
	v_fma_f16 v66, v10, s6, v66
	v_mul_f16_e32 v10, 0xbb9c, v10
	v_fma_f16 v10, v69, s6, v10
	v_mul_f16_e32 v69, 0x34f2, v7
	v_fma_f16 v69, v14, s5, -v69
	v_mul_f16_e32 v14, 0x34f2, v14
	v_fma_f16 v7, v7, s7, -v14
	v_add_f16_e32 v14, v81, v66
	v_add_f16_e32 v78, v67, v10
	v_pack_b32_f16 v14, v14, v78
	v_add_f16_e32 v78, v62, v69
	v_add_f16_e32 v82, v12, v7
	v_pack_b32_f16 v78, v78, v82
	ds_write2_b32 v57, v14, v78 offset0:6 offset1:9
	v_fma_f16 v14, v98, s7, v92
	v_fma_f16 v14, v100, s1, v14
	;; [unrolled: 1-line block ×12, first 2 shown]
	v_mul_f16_e32 v61, 0x3a79, v15
	v_fma_f16 v61, v60, s0, -v61
	v_mul_f16_e32 v60, 0x3a79, v60
	v_fma_f16 v15, v15, s1, -v60
	v_sub_f16_e32 v58, v58, v89
	v_sub_f16_e32 v60, v88, v90
	v_add_f16_e32 v64, v13, v61
	v_add_f16_e32 v73, v14, v15
	v_pack_b32_f16 v64, v64, v73
	v_pack_b32_f16 v58, v58, v60
	ds_write2_b32 v57, v64, v58 offset0:12 offset1:15
	v_sub_f16_e32 v58, v99, v80
	v_sub_f16_e32 v60, v81, v66
	;; [unrolled: 1-line block ×4, first 2 shown]
	v_pack_b32_f16 v58, v58, v64
	v_pack_b32_f16 v10, v60, v10
	ds_write2_b32 v57, v58, v10 offset0:18 offset1:21
	v_sub_f16_e32 v10, v62, v69
	v_sub_f16_e32 v13, v13, v61
	;; [unrolled: 1-line block ×4, first 2 shown]
	v_pack_b32_f16 v7, v10, v7
	v_pack_b32_f16 v10, v13, v12
	ds_write2_b32 v57, v7, v10 offset0:24 offset1:27
	v_lshrrev_b32_e32 v7, 16, v8
	v_mul_f16_sdwa v10, v7, v59 dst_sel:DWORD dst_unused:UNUSED_PAD src0_sel:DWORD src1_sel:WORD_1
	v_fma_f16 v10, v8, v59, -v10
	v_mul_f16_sdwa v8, v8, v59 dst_sel:DWORD dst_unused:UNUSED_PAD src0_sel:DWORD src1_sel:WORD_1
	v_fma_f16 v7, v7, v59, v8
	v_sub_f16_e32 v8, v5, v63
	v_sub_f16_e32 v12, v72, v70
	v_add_f16_e32 v8, v8, v12
	v_sub_f16_e32 v12, v4, v6
	v_sub_f16_e32 v13, v96, v71
	v_add_f16_e32 v12, v12, v13
	;; [unrolled: 3-line block ×4, first 2 shown]
	v_add_f16_e32 v14, v14, v15
	v_add_f16_e32 v15, v68, v97
	v_fma_f16 v60, v60, -0.5, v0
	v_sub_f16_e32 v61, v3, v10
	v_fma_f16 v15, v15, -0.5, v1
	v_sub_f16_e32 v57, v2, v7
	v_fma_f16 v62, v61, s7, v60
	v_sub_f16_e32 v64, v68, v97
	v_fma_f16 v58, v57, s5, v15
	;; [unrolled: 2-line block ×3, first 2 shown]
	v_fma_f16 v58, v59, s0, v58
	v_fma_f16 v62, v14, s6, v62
	v_fma_f16 v58, v13, s6, v58
	v_mul_f16_e32 v66, 0x38b4, v62
	v_fma_f16 v66, v58, s10, v66
	v_mul_f16_e32 v58, 0xb8b4, v58
	v_fma_f16 v58, v62, s10, v58
	v_lshrrev_b32_e32 v62, 16, v65
	v_add_f16_e32 v56, v65, v5
	v_add_f16_e32 v67, v62, v4
	;; [unrolled: 1-line block ×18, first 2 shown]
	v_pack_b32_f16 v74, v74, v75
	v_add_f16_e32 v75, v63, v70
	v_add_f16_e32 v79, v6, v71
	v_fma_f16 v75, v75, -0.5, v65
	v_sub_f16_e32 v76, v4, v96
	v_fma_f16 v79, v79, -0.5, v62
	v_sub_f16_e32 v80, v5, v72
	v_fma_f16 v77, v76, s5, v75
	v_sub_f16_e32 v78, v6, v71
	v_fma_f16 v81, v80, s7, v79
	;; [unrolled: 2-line block ×3, first 2 shown]
	v_fma_f16 v81, v82, s1, v81
	v_fma_f16 v77, v8, s6, v77
	;; [unrolled: 1-line block ×3, first 2 shown]
	v_add_f16_e32 v83, v77, v66
	v_add_f16_e32 v84, v81, v58
	v_pack_b32_f16 v83, v83, v84
	ds_write2_b32 v55, v74, v83 offset1:3
	v_add_f16_e32 v74, v5, v72
	v_fma_f16 v65, v74, -0.5, v65
	v_sub_f16_e32 v5, v63, v5
	v_sub_f16_e32 v63, v70, v72
	v_add_f16_e32 v5, v5, v63
	v_fma_f16 v63, v78, s7, v65
	v_fma_f16 v65, v78, s5, v65
	v_fma_f16 v63, v76, s0, v63
	v_fma_f16 v65, v76, s1, v65
	v_fma_f16 v63, v5, s6, v63
	v_fma_f16 v5, v5, s6, v65
	v_add_f16_e32 v65, v4, v96
	v_fma_f16 v62, v65, -0.5, v62
	v_sub_f16_e32 v4, v6, v4
	v_sub_f16_e32 v6, v71, v96
	v_add_f16_e32 v4, v4, v6
	v_fma_f16 v6, v82, s5, v62
	v_fma_f16 v62, v82, s7, v62
	v_fma_f16 v6, v80, s1, v6
	v_fma_f16 v62, v80, s0, v62
	v_fma_f16 v6, v4, s6, v6
	v_fma_f16 v4, v4, s6, v62
	;; [unrolled: 11-line block ×3, first 2 shown]
	v_add_f16_e32 v3, v2, v7
	v_fma_f16 v0, v3, -0.5, v0
	v_sub_f16_e32 v2, v9, v2
	v_sub_f16_e32 v3, v11, v7
	v_add_f16_e32 v2, v2, v3
	v_fma_f16 v3, v64, s5, v0
	v_fma_f16 v3, v61, s1, v3
	;; [unrolled: 1-line block ×5, first 2 shown]
	v_mul_f16_e32 v7, 0xbb9c, v10
	v_fma_f16 v0, v2, s6, v0
	v_mul_f16_e32 v2, 0x3b9c, v3
	v_fma_f16 v3, v3, s6, v7
	;; [unrolled: 2-line block ×3, first 2 shown]
	v_fma_f16 v7, v0, s5, -v7
	v_mul_f16_e32 v0, 0x34f2, v0
	v_fma_f16 v0, v1, s7, -v0
	v_add_f16_e32 v1, v63, v2
	v_add_f16_e32 v9, v6, v3
	v_pack_b32_f16 v1, v1, v9
	v_add_f16_e32 v9, v5, v7
	v_add_f16_e32 v10, v4, v0
	v_pack_b32_f16 v9, v9, v10
	ds_write2_b32 v55, v1, v9 offset0:6 offset1:9
	v_fma_f16 v9, v57, s7, v15
	v_fma_f16 v1, v76, s7, v75
	;; [unrolled: 1-line block ×10, first 2 shown]
	v_mul_f16_e32 v11, 0x3a79, v9
	v_fma_f16 v8, v82, s0, v8
	v_fma_f16 v11, v10, s0, -v11
	v_mul_f16_e32 v10, 0x3a79, v10
	v_fma_f16 v8, v12, s6, v8
	v_fma_f16 v9, v9, s1, -v10
	v_sub_f16_e32 v10, v56, v69
	v_sub_f16_e32 v12, v67, v73
	v_add_f16_e32 v13, v1, v11
	v_add_f16_e32 v14, v8, v9
	v_pack_b32_f16 v13, v13, v14
	v_pack_b32_f16 v10, v10, v12
	ds_write2_b32 v55, v13, v10 offset0:12 offset1:15
	v_sub_f16_e32 v10, v77, v66
	v_sub_f16_e32 v2, v63, v2
	;; [unrolled: 1-line block ×4, first 2 shown]
	v_pack_b32_f16 v6, v10, v12
	v_pack_b32_f16 v2, v2, v3
	ds_write2_b32 v55, v6, v2 offset0:18 offset1:21
	v_sub_f16_e32 v2, v5, v7
	v_sub_f16_e32 v1, v1, v11
	;; [unrolled: 1-line block ×4, first 2 shown]
	v_pack_b32_f16 v0, v2, v0
	v_pack_b32_f16 v1, v1, v3
	ds_write2_b32 v55, v0, v1 offset0:24 offset1:27
	v_mul_lo_u16_sdwa v0, v16, s11 dst_sel:DWORD dst_unused:UNUSED_PAD src0_sel:BYTE_0 src1_sel:DWORD
	v_lshrrev_b16_e32 v58, 12, v0
	v_mul_lo_u16_e32 v0, 30, v58
	v_sub_u16_e32 v59, v16, v0
	v_mul_u32_u24_sdwa v0, v59, v54 dst_sel:DWORD dst_unused:UNUSED_PAD src0_sel:BYTE_0 src1_sel:DWORD
	v_lshlrev_b32_e32 v61, 2, v0
	s_waitcnt lgkmcnt(0)
	s_barrier
	global_load_dwordx4 v[0:3], v61, s[8:9] offset:108
	v_mul_lo_u16_sdwa v4, v20, s11 dst_sel:DWORD dst_unused:UNUSED_PAD src0_sel:BYTE_0 src1_sel:DWORD
	v_lshrrev_b16_e32 v56, 12, v4
	v_mul_lo_u16_e32 v4, 30, v56
	v_sub_u16_e32 v57, v20, v4
	v_mul_u32_u24_sdwa v4, v57, v54 dst_sel:DWORD dst_unused:UNUSED_PAD src0_sel:BYTE_0 src1_sel:DWORD
	v_lshlrev_b32_e32 v62, 2, v4
	global_load_dwordx4 v[4:7], v62, s[8:9] offset:108
	s_mov_b32 s11, 0x8889
	v_mul_u32_u24_sdwa v8, v34, s11 dst_sel:DWORD dst_unused:UNUSED_PAD src0_sel:WORD_0 src1_sel:DWORD
	v_lshrrev_b32_e32 v54, 20, v8
	v_mul_lo_u16_e32 v8, 30, v54
	v_sub_u16_e32 v55, v34, v8
	v_mul_u32_u24_e32 v8, 9, v55
	v_lshlrev_b32_e32 v60, 2, v8
	global_load_dwordx4 v[8:11], v60, s[8:9] offset:108
	global_load_dwordx4 v[12:15], v61, s[8:9] offset:124
	ds_read_b32 v65, v46
	ds_read_b32 v64, v45
	;; [unrolled: 1-line block ×4, first 2 shown]
	global_load_dword v61, v61, s[8:9] offset:140
	s_waitcnt lgkmcnt(3)
	v_lshrrev_b32_e32 v67, 16, v65
	ds_read_b32 v109, v36
	s_waitcnt lgkmcnt(2)
	v_lshrrev_b32_e32 v71, 16, v63
	v_mul_u32_u24_e32 v56, 0x4b0, v56
	v_mul_u32_u24_e32 v54, 0x4b0, v54
	v_lshlrev_b32_e32 v55, 2, v55
	v_add3_u32 v54, 0, v54, v55
	s_waitcnt vmcnt(4)
	v_mul_f16_sdwa v68, v0, v67 dst_sel:DWORD dst_unused:UNUSED_PAD src0_sel:WORD_1 src1_sel:DWORD
	v_fma_f16 v75, v0, v65, -v68
	v_mul_f16_sdwa v65, v0, v65 dst_sel:DWORD dst_unused:UNUSED_PAD src0_sel:WORD_1 src1_sel:DWORD
	v_fma_f16 v65, v0, v67, v65
	v_lshrrev_b32_e32 v0, 16, v64
	v_mul_f16_sdwa v67, v1, v0 dst_sel:DWORD dst_unused:UNUSED_PAD src0_sel:WORD_1 src1_sel:DWORD
	v_fma_f16 v76, v1, v64, -v67
	global_load_dwordx4 v[67:70], v62, s[8:9] offset:124
	v_mul_f16_sdwa v64, v1, v64 dst_sel:DWORD dst_unused:UNUSED_PAD src0_sel:WORD_1 src1_sel:DWORD
	v_fma_f16 v64, v1, v0, v64
	ds_read2_b32 v[0:1], v40 offset0:56 offset1:146
	v_mul_f16_sdwa v72, v2, v71 dst_sel:DWORD dst_unused:UNUSED_PAD src0_sel:WORD_1 src1_sel:DWORD
	v_fma_f16 v77, v2, v63, -v72
	v_mul_f16_sdwa v63, v2, v63 dst_sel:DWORD dst_unused:UNUSED_PAD src0_sel:WORD_1 src1_sel:DWORD
	v_fma_f16 v63, v2, v71, v63
	s_waitcnt lgkmcnt(0)
	v_lshrrev_b32_e32 v2, 16, v0
	v_mul_f16_sdwa v71, v0, v3 dst_sel:DWORD dst_unused:UNUSED_PAD src0_sel:DWORD src1_sel:WORD_1
	v_fma_f16 v78, v2, v3, v71
	global_load_dwordx4 v[71:74], v60, s[8:9] offset:124
	v_mul_f16_sdwa v2, v2, v3 dst_sel:DWORD dst_unused:UNUSED_PAD src0_sel:DWORD src1_sel:WORD_1
	global_load_dword v60, v60, s[8:9] offset:140
	v_fma_f16 v79, v0, v3, -v2
	ds_read2_b32 v[2:3], v52 offset0:104 offset1:194
	v_lshrrev_b32_e32 v0, 16, v1
	s_waitcnt vmcnt(6)
	v_mul_f16_sdwa v52, v0, v7 dst_sel:DWORD dst_unused:UNUSED_PAD src0_sel:DWORD src1_sel:WORD_1
	v_fma_f16 v80, v1, v7, -v52
	v_mul_f16_sdwa v1, v1, v7 dst_sel:DWORD dst_unused:UNUSED_PAD src0_sel:DWORD src1_sel:WORD_1
	v_fma_f16 v81, v0, v7, v1
	s_waitcnt lgkmcnt(0)
	v_lshrrev_b32_e32 v0, 16, v2
	ds_read2_b32 v[51:52], v51 offset0:118 offset1:208
	v_mul_f16_sdwa v1, v2, v4 dst_sel:DWORD dst_unused:UNUSED_PAD src0_sel:DWORD src1_sel:WORD_1
	v_fma_f16 v82, v0, v4, v1
	v_mul_f16_sdwa v0, v0, v4 dst_sel:DWORD dst_unused:UNUSED_PAD src0_sel:DWORD src1_sel:WORD_1
	v_fma_f16 v83, v2, v4, -v0
	ds_read2_b32 v[1:2], v49 offset0:132 offset1:222
	s_waitcnt lgkmcnt(1)
	v_lshrrev_b32_e32 v0, 16, v51
	v_mul_f16_sdwa v4, v51, v5 dst_sel:DWORD dst_unused:UNUSED_PAD src0_sel:DWORD src1_sel:WORD_1
	v_fma_f16 v84, v0, v5, v4
	v_mul_f16_sdwa v0, v0, v5 dst_sel:DWORD dst_unused:UNUSED_PAD src0_sel:DWORD src1_sel:WORD_1
	v_fma_f16 v51, v51, v5, -v0
	s_waitcnt lgkmcnt(0)
	v_lshrrev_b32_e32 v0, 16, v1
	v_mul_f16_sdwa v4, v1, v6 dst_sel:DWORD dst_unused:UNUSED_PAD src0_sel:DWORD src1_sel:WORD_1
	v_fma_f16 v85, v0, v6, v4
	v_mul_f16_sdwa v0, v0, v6 dst_sel:DWORD dst_unused:UNUSED_PAD src0_sel:DWORD src1_sel:WORD_1
	v_fma_f16 v86, v1, v6, -v0
	v_lshrrev_b32_e32 v0, 16, v3
	s_waitcnt vmcnt(5)
	v_mul_f16_sdwa v1, v0, v8 dst_sel:DWORD dst_unused:UNUSED_PAD src0_sel:DWORD src1_sel:WORD_1
	v_fma_f16 v1, v3, v8, -v1
	v_mul_f16_sdwa v3, v3, v8 dst_sel:DWORD dst_unused:UNUSED_PAD src0_sel:DWORD src1_sel:WORD_1
	v_fma_f16 v0, v0, v8, v3
	v_lshrrev_b32_e32 v3, 16, v52
	ds_read2_b32 v[7:8], v32 offset0:108 offset1:198
	v_mul_f16_sdwa v4, v3, v9 dst_sel:DWORD dst_unused:UNUSED_PAD src0_sel:DWORD src1_sel:WORD_1
	v_fma_f16 v5, v52, v9, -v4
	v_mul_f16_sdwa v4, v52, v9 dst_sel:DWORD dst_unused:UNUSED_PAD src0_sel:DWORD src1_sel:WORD_1
	v_lshrrev_b32_e32 v6, 16, v2
	v_fma_f16 v4, v3, v9, v4
	v_mul_f16_sdwa v3, v6, v10 dst_sel:DWORD dst_unused:UNUSED_PAD src0_sel:DWORD src1_sel:WORD_1
	v_fma_f16 v3, v2, v10, -v3
	v_mul_f16_sdwa v2, v2, v10 dst_sel:DWORD dst_unused:UNUSED_PAD src0_sel:DWORD src1_sel:WORD_1
	v_fma_f16 v2, v6, v10, v2
	s_waitcnt lgkmcnt(0)
	v_lshrrev_b32_e32 v9, 16, v7
	v_mul_f16_sdwa v6, v7, v11 dst_sel:DWORD dst_unused:UNUSED_PAD src0_sel:DWORD src1_sel:WORD_1
	v_fma_f16 v6, v9, v11, v6
	v_mul_f16_sdwa v9, v9, v11 dst_sel:DWORD dst_unused:UNUSED_PAD src0_sel:DWORD src1_sel:WORD_1
	v_fma_f16 v52, v7, v11, -v9
	ds_read2_b32 v[9:10], v24 offset0:84 offset1:174
	v_lshrrev_b32_e32 v7, 16, v8
	s_waitcnt vmcnt(4)
	v_mul_f16_sdwa v11, v7, v12 dst_sel:DWORD dst_unused:UNUSED_PAD src0_sel:DWORD src1_sel:WORD_1
	v_fma_f16 v87, v8, v12, -v11
	v_mul_f16_sdwa v8, v8, v12 dst_sel:DWORD dst_unused:UNUSED_PAD src0_sel:DWORD src1_sel:WORD_1
	v_fma_f16 v88, v7, v12, v8
	s_waitcnt lgkmcnt(0)
	v_lshrrev_b32_e32 v11, 16, v9
	ds_read2_b32 v[7:8], v48 offset0:8 offset1:98
	v_mul_f16_sdwa v12, v9, v13 dst_sel:DWORD dst_unused:UNUSED_PAD src0_sel:DWORD src1_sel:WORD_1
	v_fma_f16 v89, v11, v13, v12
	v_mul_f16_sdwa v11, v11, v13 dst_sel:DWORD dst_unused:UNUSED_PAD src0_sel:DWORD src1_sel:WORD_1
	v_fma_f16 v13, v9, v13, -v11
	ds_read2_b32 v[11:12], v30 offset0:112 offset1:202
	s_waitcnt lgkmcnt(1)
	v_lshrrev_b32_e32 v9, 16, v8
	v_mul_f16_sdwa v90, v8, v14 dst_sel:DWORD dst_unused:UNUSED_PAD src0_sel:DWORD src1_sel:WORD_1
	v_fma_f16 v90, v9, v14, v90
	v_mul_f16_sdwa v9, v9, v14 dst_sel:DWORD dst_unused:UNUSED_PAD src0_sel:DWORD src1_sel:WORD_1
	v_fma_f16 v14, v8, v14, -v9
	s_waitcnt lgkmcnt(0)
	v_lshrrev_b32_e32 v8, 16, v11
	v_mul_f16_sdwa v9, v11, v15 dst_sel:DWORD dst_unused:UNUSED_PAD src0_sel:DWORD src1_sel:WORD_1
	v_fma_f16 v91, v8, v15, v9
	v_mul_f16_sdwa v8, v8, v15 dst_sel:DWORD dst_unused:UNUSED_PAD src0_sel:DWORD src1_sel:WORD_1
	v_fma_f16 v15, v11, v15, -v8
	v_lshrrev_b32_e32 v8, 16, v10
	s_waitcnt vmcnt(2)
	v_mul_f16_sdwa v9, v8, v68 dst_sel:DWORD dst_unused:UNUSED_PAD src0_sel:DWORD src1_sel:WORD_1
	v_fma_f16 v92, v10, v68, -v9
	v_mul_f16_sdwa v9, v10, v68 dst_sel:DWORD dst_unused:UNUSED_PAD src0_sel:DWORD src1_sel:WORD_1
	v_lshrrev_b32_e32 v10, 16, v12
	v_fma_f16 v68, v8, v68, v9
	ds_read2_b32 v[8:9], v28 offset0:160 offset1:250
	v_mul_f16_sdwa v11, v10, v70 dst_sel:DWORD dst_unused:UNUSED_PAD src0_sel:DWORD src1_sel:WORD_1
	v_fma_f16 v93, v12, v70, -v11
	v_mul_f16_sdwa v11, v12, v70 dst_sel:DWORD dst_unused:UNUSED_PAD src0_sel:DWORD src1_sel:WORD_1
	v_fma_f16 v12, v10, v70, v11
	ds_read2_b32 v[10:11], v35 offset0:60 offset1:150
	s_waitcnt lgkmcnt(1)
	v_lshrrev_b32_e32 v70, 16, v8
	v_mul_f16_sdwa v94, v8, v67 dst_sel:DWORD dst_unused:UNUSED_PAD src0_sel:DWORD src1_sel:WORD_1
	v_fma_f16 v94, v70, v67, v94
	v_mul_f16_sdwa v70, v70, v67 dst_sel:DWORD dst_unused:UNUSED_PAD src0_sel:DWORD src1_sel:WORD_1
	v_fma_f16 v67, v8, v67, -v70
	s_waitcnt lgkmcnt(0)
	v_lshrrev_b32_e32 v8, 16, v10
	v_mul_f16_sdwa v70, v10, v69 dst_sel:DWORD dst_unused:UNUSED_PAD src0_sel:DWORD src1_sel:WORD_1
	v_fma_f16 v70, v8, v69, v70
	v_mul_f16_sdwa v8, v8, v69 dst_sel:DWORD dst_unused:UNUSED_PAD src0_sel:DWORD src1_sel:WORD_1
	v_fma_f16 v10, v10, v69, -v8
	v_lshrrev_b32_e32 v8, 16, v9
	s_waitcnt vmcnt(1)
	v_mul_f16_sdwa v69, v8, v71 dst_sel:DWORD dst_unused:UNUSED_PAD src0_sel:DWORD src1_sel:WORD_1
	v_fma_f16 v69, v9, v71, -v69
	v_mul_f16_sdwa v9, v9, v71 dst_sel:DWORD dst_unused:UNUSED_PAD src0_sel:DWORD src1_sel:WORD_1
	v_fma_f16 v9, v8, v71, v9
	v_lshrrev_b32_e32 v8, 16, v7
	v_mul_f16_sdwa v71, v8, v72 dst_sel:DWORD dst_unused:UNUSED_PAD src0_sel:DWORD src1_sel:WORD_1
	v_fma_f16 v71, v7, v72, -v71
	v_mul_f16_sdwa v7, v7, v72 dst_sel:DWORD dst_unused:UNUSED_PAD src0_sel:DWORD src1_sel:WORD_1
	v_fma_f16 v72, v8, v72, v7
	ds_read2_b32 v[7:8], v26 offset0:36 offset1:126
	global_load_dword v62, v62, s[8:9] offset:140
	v_lshrrev_b32_e32 v95, 16, v11
	v_mul_f16_sdwa v96, v95, v73 dst_sel:DWORD dst_unused:UNUSED_PAD src0_sel:DWORD src1_sel:WORD_1
	v_fma_f16 v96, v11, v73, -v96
	v_mul_f16_sdwa v11, v11, v73 dst_sel:DWORD dst_unused:UNUSED_PAD src0_sel:DWORD src1_sel:WORD_1
	v_fma_f16 v11, v95, v73, v11
	s_waitcnt lgkmcnt(0)
	v_lshrrev_b32_e32 v73, 16, v7
	v_mul_f16_sdwa v95, v7, v74 dst_sel:DWORD dst_unused:UNUSED_PAD src0_sel:DWORD src1_sel:WORD_1
	v_fma_f16 v95, v73, v74, v95
	v_mul_f16_sdwa v73, v73, v74 dst_sel:DWORD dst_unused:UNUSED_PAD src0_sel:DWORD src1_sel:WORD_1
	v_fma_f16 v73, v7, v74, -v73
	v_lshrrev_b32_e32 v7, 16, v8
	v_mul_f16_sdwa v74, v7, v61 dst_sel:DWORD dst_unused:UNUSED_PAD src0_sel:DWORD src1_sel:WORD_1
	v_fma_f16 v74, v8, v61, -v74
	v_mul_f16_sdwa v8, v8, v61 dst_sel:DWORD dst_unused:UNUSED_PAD src0_sel:DWORD src1_sel:WORD_1
	v_fma_f16 v61, v7, v61, v8
	v_sub_f16_e32 v7, v76, v79
	v_sub_f16_e32 v8, v15, v13
	v_add_f16_e32 v97, v7, v8
	v_sub_f16_e32 v7, v64, v78
	v_sub_f16_e32 v8, v91, v89
	v_add_f16_e32 v98, v7, v8
	;; [unrolled: 3-line block ×4, first 2 shown]
	v_add_f16_e32 v8, v88, v90
	v_add_f16_e32 v7, v87, v14
	v_fma_f16 v104, v8, -0.5, v65
	v_sub_f16_e32 v105, v77, v74
	v_fma_f16 v101, v7, -0.5, v75
	v_sub_f16_e32 v102, v63, v61
	v_fma_f16 v8, v105, s7, v104
	v_sub_f16_e32 v106, v87, v14
	v_fma_f16 v7, v102, s5, v101
	;; [unrolled: 2-line block ×3, first 2 shown]
	v_fma_f16 v7, v103, s0, v7
	v_fma_f16 v8, v100, s6, v8
	;; [unrolled: 1-line block ×3, first 2 shown]
	v_mul_f16_e32 v107, 0x38b4, v8
	v_fma_f16 v107, v7, s10, v107
	v_mul_f16_e32 v7, 0xb8b4, v7
	v_fma_f16 v108, v8, s10, v7
	v_mul_u32_u24_e32 v7, 0x4b0, v58
	v_lshlrev_b32_sdwa v8, v53, v59 dst_sel:DWORD dst_unused:UNUSED_PAD src0_sel:DWORD src1_sel:BYTE_0
	v_add3_u32 v58, 0, v7, v8
	ds_read_b32 v59, v50
	v_add_f16_e32 v7, v109, v76
	v_add_f16_e32 v7, v7, v79
	;; [unrolled: 1-line block ×3, first 2 shown]
	v_lshrrev_b32_e32 v111, 16, v109
	v_add_f16_e32 v110, v7, v15
	v_add_f16_e32 v7, v111, v64
	;; [unrolled: 1-line block ×15, first 2 shown]
	v_pack_b32_f16 v115, v7, v8
	v_add_f16_e32 v7, v79, v13
	v_fma_f16 v116, v7, -0.5, v109
	v_sub_f16_e32 v117, v64, v91
	v_fma_f16 v7, v117, s5, v116
	v_sub_f16_e32 v118, v78, v89
	v_fma_f16 v7, v118, s0, v7
	v_fma_f16 v119, v97, s6, v7
	v_add_f16_e32 v7, v78, v89
	v_fma_f16 v120, v7, -0.5, v111
	v_sub_f16_e32 v121, v76, v15
	v_fma_f16 v7, v121, s7, v120
	v_sub_f16_e32 v122, v79, v13
	v_fma_f16 v7, v122, s1, v7
	v_fma_f16 v123, v98, s6, v7
	v_add_f16_e32 v7, v119, v107
	v_add_f16_e32 v8, v123, v108
	v_pack_b32_f16 v124, v7, v8
	ds_read2_b32 v[7:8], v21 offset0:88 offset1:178
	s_waitcnt vmcnt(0) lgkmcnt(0)
	s_barrier
	ds_write2_b32 v58, v115, v124 offset1:30
	v_add_f16_e32 v115, v76, v15
	v_fma_f16 v109, v115, -0.5, v109
	v_sub_f16_e32 v76, v79, v76
	v_sub_f16_e32 v13, v13, v15
	v_add_f16_e32 v13, v76, v13
	v_fma_f16 v15, v118, s7, v109
	v_fma_f16 v76, v118, s5, v109
	;; [unrolled: 1-line block ×6, first 2 shown]
	v_add_f16_e32 v76, v64, v91
	v_fma_f16 v76, v76, -0.5, v111
	v_sub_f16_e32 v64, v78, v64
	v_sub_f16_e32 v78, v89, v91
	v_add_f16_e32 v64, v64, v78
	v_fma_f16 v78, v122, s5, v76
	v_fma_f16 v76, v122, s7, v76
	;; [unrolled: 1-line block ×6, first 2 shown]
	v_add_f16_e32 v76, v77, v74
	v_fma_f16 v75, v76, -0.5, v75
	v_sub_f16_e32 v76, v87, v77
	v_sub_f16_e32 v14, v14, v74
	v_fma_f16 v74, v103, s7, v75
	v_fma_f16 v75, v103, s5, v75
	v_add_f16_e32 v14, v76, v14
	v_fma_f16 v74, v102, s0, v74
	v_fma_f16 v75, v102, s1, v75
	;; [unrolled: 1-line block ×4, first 2 shown]
	v_add_f16_e32 v75, v63, v61
	v_fma_f16 v65, v75, -0.5, v65
	v_sub_f16_e32 v63, v88, v63
	v_sub_f16_e32 v61, v90, v61
	v_add_f16_e32 v61, v63, v61
	v_fma_f16 v63, v106, s5, v65
	v_fma_f16 v63, v105, s1, v63
	v_fma_f16 v65, v106, s7, v65
	v_fma_f16 v63, v61, s6, v63
	v_fma_f16 v65, v105, s0, v65
	v_fma_f16 v61, v61, s6, v65
	v_mul_f16_e32 v65, 0x3b9c, v63
	v_fma_f16 v65, v74, s6, v65
	v_mul_f16_e32 v74, 0xbb9c, v74
	v_fma_f16 v63, v63, s6, v74
	v_mul_f16_e32 v74, 0x34f2, v14
	v_fma_f16 v74, v61, s5, -v74
	v_mul_f16_e32 v61, 0x34f2, v61
	v_fma_f16 v14, v14, s7, -v61
	v_add_f16_e32 v61, v15, v65
	v_add_f16_e32 v75, v78, v63
	v_pack_b32_f16 v61, v61, v75
	v_add_f16_e32 v75, v13, v74
	v_add_f16_e32 v76, v64, v14
	v_pack_b32_f16 v75, v75, v76
	v_fma_f16 v76, v102, s7, v101
	v_fma_f16 v76, v103, s1, v76
	v_fma_f16 v77, v105, s5, v104
	v_fma_f16 v76, v99, s6, v76
	v_fma_f16 v77, v106, s0, v77
	ds_write2_b32 v58, v61, v75 offset0:60 offset1:90
	v_fma_f16 v61, v117, s7, v116
	v_fma_f16 v75, v121, s5, v120
	;; [unrolled: 1-line block ×3, first 2 shown]
	v_mul_f16_e32 v79, 0x3a79, v76
	v_fma_f16 v61, v118, s1, v61
	v_fma_f16 v75, v122, s0, v75
	v_fma_f16 v79, v77, s0, -v79
	v_mul_f16_e32 v77, 0x3a79, v77
	v_fma_f16 v61, v97, s6, v61
	v_fma_f16 v75, v98, s6, v75
	v_fma_f16 v76, v76, s1, -v77
	v_sub_f16_e32 v77, v110, v113
	v_sub_f16_e32 v87, v112, v114
	v_add_f16_e32 v88, v61, v79
	v_add_f16_e32 v89, v75, v76
	v_pack_b32_f16 v88, v88, v89
	v_pack_b32_f16 v77, v77, v87
	ds_write2_b32 v58, v88, v77 offset0:120 offset1:150
	v_sub_f16_e32 v77, v119, v107
	v_sub_f16_e32 v15, v15, v65
	;; [unrolled: 1-line block ×4, first 2 shown]
	v_pack_b32_f16 v65, v77, v65
	v_pack_b32_f16 v15, v15, v63
	ds_write2_b32 v58, v65, v15 offset0:180 offset1:210
	v_sub_f16_e32 v13, v13, v74
	v_sub_f16_e32 v15, v61, v79
	;; [unrolled: 1-line block ×4, first 2 shown]
	v_pack_b32_f16 v13, v13, v14
	v_pack_b32_f16 v14, v15, v61
	v_add_u32_e32 v15, 0x200, v58
	ds_write2_b32 v15, v13, v14 offset0:112 offset1:142
	v_lshrrev_b32_e32 v13, 16, v7
	v_mul_f16_sdwa v14, v7, v62 dst_sel:DWORD dst_unused:UNUSED_PAD src0_sel:DWORD src1_sel:WORD_1
	v_fma_f16 v14, v13, v62, v14
	v_mul_f16_sdwa v13, v13, v62 dst_sel:DWORD dst_unused:UNUSED_PAD src0_sel:DWORD src1_sel:WORD_1
	v_fma_f16 v7, v7, v62, -v13
	v_sub_f16_e32 v13, v51, v80
	v_sub_f16_e32 v15, v93, v92
	v_add_f16_e32 v13, v13, v15
	v_sub_f16_e32 v15, v84, v81
	v_sub_f16_e32 v58, v12, v68
	v_add_f16_e32 v15, v15, v58
	;; [unrolled: 3-line block ×4, first 2 shown]
	v_add_f16_e32 v61, v61, v62
	v_add_f16_e32 v62, v67, v10
	v_fma_f16 v74, v74, -0.5, v82
	v_sub_f16_e32 v75, v86, v7
	v_fma_f16 v62, v62, -0.5, v83
	v_sub_f16_e32 v63, v85, v14
	v_fma_f16 v76, v75, s7, v74
	v_sub_f16_e32 v77, v67, v10
	v_fma_f16 v64, v63, s5, v62
	v_sub_f16_e32 v65, v94, v70
	v_fma_f16 v76, v77, s1, v76
	v_fma_f16 v64, v65, s0, v64
	v_fma_f16 v76, v61, s6, v76
	;; [unrolled: 1-line block ×3, first 2 shown]
	v_mul_f16_e32 v78, 0x38b4, v76
	v_fma_f16 v78, v64, s10, v78
	v_mul_f16_e32 v64, 0xb8b4, v64
	v_lshlrev_b32_sdwa v53, v53, v57 dst_sel:DWORD dst_unused:UNUSED_PAD src0_sel:DWORD src1_sel:BYTE_0
	v_lshrrev_b32_e32 v57, 16, v59
	v_fma_f16 v64, v76, s10, v64
	v_add3_u32 v53, 0, v56, v53
	v_add_f16_e32 v56, v59, v51
	v_add_f16_e32 v76, v57, v84
	;; [unrolled: 1-line block ×18, first 2 shown]
	v_pack_b32_f16 v88, v88, v89
	v_add_f16_e32 v89, v80, v92
	v_add_f16_e32 v98, v81, v68
	v_fma_f16 v89, v89, -0.5, v59
	v_sub_f16_e32 v90, v84, v12
	v_fma_f16 v98, v98, -0.5, v57
	v_sub_f16_e32 v99, v51, v93
	v_fma_f16 v91, v90, s5, v89
	v_sub_f16_e32 v97, v81, v68
	v_fma_f16 v100, v99, s7, v98
	v_sub_f16_e32 v101, v80, v92
	v_fma_f16 v91, v97, s0, v91
	v_fma_f16 v100, v101, s1, v100
	v_fma_f16 v91, v13, s6, v91
	;; [unrolled: 1-line block ×3, first 2 shown]
	v_add_f16_e32 v102, v91, v78
	v_add_f16_e32 v103, v100, v64
	v_pack_b32_f16 v102, v102, v103
	ds_write2_b32 v53, v88, v102 offset1:30
	v_add_f16_e32 v88, v51, v93
	v_fma_f16 v59, v88, -0.5, v59
	v_sub_f16_e32 v51, v80, v51
	v_sub_f16_e32 v80, v92, v93
	v_add_f16_e32 v51, v51, v80
	v_fma_f16 v80, v97, s7, v59
	v_fma_f16 v59, v97, s5, v59
	;; [unrolled: 1-line block ×6, first 2 shown]
	v_add_f16_e32 v59, v84, v12
	v_fma_f16 v57, v59, -0.5, v57
	v_sub_f16_e32 v59, v81, v84
	v_sub_f16_e32 v12, v68, v12
	v_add_f16_e32 v12, v59, v12
	v_fma_f16 v59, v101, s5, v57
	v_fma_f16 v57, v101, s7, v57
	;; [unrolled: 1-line block ×6, first 2 shown]
	v_add_f16_e32 v57, v86, v7
	v_fma_f16 v57, v57, -0.5, v83
	v_sub_f16_e32 v67, v67, v86
	v_sub_f16_e32 v7, v10, v7
	v_fma_f16 v10, v65, s7, v57
	v_fma_f16 v57, v65, s5, v57
	v_add_f16_e32 v7, v67, v7
	v_fma_f16 v10, v63, s0, v10
	v_fma_f16 v57, v63, s1, v57
	;; [unrolled: 1-line block ×4, first 2 shown]
	v_add_f16_e32 v57, v85, v14
	v_fma_f16 v57, v57, -0.5, v82
	v_sub_f16_e32 v67, v94, v85
	v_sub_f16_e32 v14, v70, v14
	v_add_f16_e32 v14, v67, v14
	v_fma_f16 v67, v77, s5, v57
	v_fma_f16 v67, v75, s1, v67
	;; [unrolled: 1-line block ×6, first 2 shown]
	v_mul_f16_e32 v57, 0x3b9c, v67
	v_fma_f16 v57, v10, s6, v57
	v_mul_f16_e32 v10, 0xbb9c, v10
	v_fma_f16 v10, v67, s6, v10
	v_mul_f16_e32 v67, 0x34f2, v7
	v_fma_f16 v67, v14, s5, -v67
	v_mul_f16_e32 v14, 0x34f2, v14
	v_fma_f16 v7, v7, s7, -v14
	v_add_f16_e32 v14, v80, v57
	v_add_f16_e32 v68, v59, v10
	v_pack_b32_f16 v14, v14, v68
	v_add_f16_e32 v68, v51, v67
	v_add_f16_e32 v70, v12, v7
	v_pack_b32_f16 v68, v68, v70
	ds_write2_b32 v53, v14, v68 offset0:60 offset1:90
	v_fma_f16 v14, v90, s7, v89
	v_fma_f16 v14, v97, s1, v14
	;; [unrolled: 1-line block ×12, first 2 shown]
	v_mul_f16_e32 v61, 0x3a79, v15
	v_fma_f16 v61, v58, s0, -v61
	v_mul_f16_e32 v58, 0x3a79, v58
	v_fma_f16 v15, v15, s1, -v58
	v_sub_f16_e32 v56, v56, v79
	v_sub_f16_e32 v58, v76, v87
	v_add_f16_e32 v62, v13, v61
	v_add_f16_e32 v63, v14, v15
	v_pack_b32_f16 v62, v62, v63
	v_pack_b32_f16 v56, v56, v58
	ds_write2_b32 v53, v62, v56 offset0:120 offset1:150
	v_sub_f16_e32 v56, v91, v78
	v_sub_f16_e32 v57, v80, v57
	;; [unrolled: 1-line block ×4, first 2 shown]
	v_pack_b32_f16 v56, v56, v58
	v_pack_b32_f16 v10, v57, v10
	ds_write2_b32 v53, v56, v10 offset0:180 offset1:210
	v_sub_f16_e32 v10, v51, v67
	v_sub_f16_e32 v13, v13, v61
	;; [unrolled: 1-line block ×4, first 2 shown]
	v_pack_b32_f16 v7, v10, v7
	v_pack_b32_f16 v10, v13, v12
	v_add_u32_e32 v12, 0x200, v53
	ds_write2_b32 v12, v7, v10 offset0:112 offset1:142
	v_lshrrev_b32_e32 v7, 16, v8
	v_mul_f16_sdwa v10, v7, v60 dst_sel:DWORD dst_unused:UNUSED_PAD src0_sel:DWORD src1_sel:WORD_1
	v_fma_f16 v10, v8, v60, -v10
	v_mul_f16_sdwa v8, v8, v60 dst_sel:DWORD dst_unused:UNUSED_PAD src0_sel:DWORD src1_sel:WORD_1
	v_fma_f16 v7, v7, v60, v8
	v_sub_f16_e32 v8, v5, v52
	v_sub_f16_e32 v12, v73, v71
	v_add_f16_e32 v8, v8, v12
	v_sub_f16_e32 v12, v4, v6
	v_sub_f16_e32 v13, v95, v72
	v_add_f16_e32 v12, v12, v13
	;; [unrolled: 3-line block ×4, first 2 shown]
	v_add_f16_e32 v14, v14, v15
	v_add_f16_e32 v15, v69, v96
	v_fma_f16 v57, v57, -0.5, v0
	v_sub_f16_e32 v58, v3, v10
	v_fma_f16 v15, v15, -0.5, v1
	v_sub_f16_e32 v51, v2, v7
	v_fma_f16 v59, v58, s7, v57
	v_sub_f16_e32 v60, v69, v96
	v_fma_f16 v53, v51, s5, v15
	;; [unrolled: 2-line block ×3, first 2 shown]
	v_fma_f16 v53, v56, s0, v53
	v_fma_f16 v59, v14, s6, v59
	;; [unrolled: 1-line block ×3, first 2 shown]
	v_mul_f16_e32 v61, 0x38b4, v59
	v_fma_f16 v61, v53, s10, v61
	v_mul_f16_e32 v53, 0xb8b4, v53
	v_fma_f16 v53, v59, s10, v53
	v_lshrrev_b32_e32 v59, 16, v66
	v_add_f16_e32 v55, v66, v5
	v_add_f16_e32 v62, v59, v4
	;; [unrolled: 1-line block ×18, first 2 shown]
	v_pack_b32_f16 v65, v65, v67
	v_add_f16_e32 v67, v52, v71
	v_add_f16_e32 v75, v6, v72
	v_fma_f16 v67, v67, -0.5, v66
	v_sub_f16_e32 v68, v4, v95
	v_fma_f16 v75, v75, -0.5, v59
	v_sub_f16_e32 v76, v5, v73
	v_fma_f16 v70, v68, s5, v67
	v_sub_f16_e32 v74, v6, v72
	v_fma_f16 v77, v76, s7, v75
	v_sub_f16_e32 v78, v52, v71
	v_fma_f16 v70, v74, s0, v70
	v_fma_f16 v77, v78, s1, v77
	v_fma_f16 v70, v8, s6, v70
	;; [unrolled: 1-line block ×3, first 2 shown]
	v_add_f16_e32 v79, v70, v61
	v_add_f16_e32 v80, v77, v53
	v_pack_b32_f16 v79, v79, v80
	ds_write2_b32 v54, v65, v79 offset1:30
	v_add_f16_e32 v65, v5, v73
	v_fma_f16 v65, v65, -0.5, v66
	v_sub_f16_e32 v5, v52, v5
	v_sub_f16_e32 v52, v71, v73
	v_add_f16_e32 v5, v5, v52
	v_fma_f16 v52, v74, s7, v65
	v_fma_f16 v65, v74, s5, v65
	v_fma_f16 v52, v68, s0, v52
	v_fma_f16 v65, v68, s1, v65
	v_fma_f16 v52, v5, s6, v52
	v_fma_f16 v5, v5, s6, v65
	v_add_f16_e32 v65, v4, v95
	v_fma_f16 v59, v65, -0.5, v59
	v_sub_f16_e32 v4, v6, v4
	v_sub_f16_e32 v6, v72, v95
	v_add_f16_e32 v4, v4, v6
	v_fma_f16 v6, v78, s5, v59
	v_fma_f16 v59, v78, s7, v59
	v_fma_f16 v6, v76, s1, v6
	v_fma_f16 v59, v76, s0, v59
	v_fma_f16 v6, v4, s6, v6
	v_fma_f16 v4, v4, s6, v59
	;; [unrolled: 11-line block ×3, first 2 shown]
	v_add_f16_e32 v3, v2, v7
	v_fma_f16 v0, v3, -0.5, v0
	v_sub_f16_e32 v2, v9, v2
	v_sub_f16_e32 v3, v11, v7
	v_add_f16_e32 v2, v2, v3
	v_fma_f16 v3, v60, s5, v0
	v_fma_f16 v3, v58, s1, v3
	;; [unrolled: 1-line block ×5, first 2 shown]
	v_mul_f16_e32 v7, 0xbb9c, v10
	v_fma_f16 v0, v2, s6, v0
	v_mul_f16_e32 v2, 0x3b9c, v3
	v_fma_f16 v3, v3, s6, v7
	;; [unrolled: 2-line block ×3, first 2 shown]
	v_fma_f16 v7, v0, s5, -v7
	v_mul_f16_e32 v0, 0x34f2, v0
	v_fma_f16 v0, v1, s7, -v0
	v_add_f16_e32 v1, v52, v2
	v_add_f16_e32 v9, v6, v3
	v_pack_b32_f16 v1, v1, v9
	v_add_f16_e32 v9, v5, v7
	v_add_f16_e32 v10, v4, v0
	v_pack_b32_f16 v9, v9, v10
	ds_write2_b32 v54, v1, v9 offset0:60 offset1:90
	v_fma_f16 v9, v51, s7, v15
	v_fma_f16 v1, v68, s7, v67
	;; [unrolled: 1-line block ×10, first 2 shown]
	v_mul_f16_e32 v11, 0x3a79, v9
	v_fma_f16 v8, v78, s0, v8
	v_fma_f16 v11, v10, s0, -v11
	v_mul_f16_e32 v10, 0x3a79, v10
	v_fma_f16 v8, v12, s6, v8
	v_fma_f16 v9, v9, s1, -v10
	v_sub_f16_e32 v10, v55, v63
	v_sub_f16_e32 v12, v62, v64
	v_add_f16_e32 v13, v1, v11
	v_add_f16_e32 v14, v8, v9
	v_pack_b32_f16 v13, v13, v14
	v_pack_b32_f16 v10, v10, v12
	ds_write2_b32 v54, v13, v10 offset0:120 offset1:150
	v_sub_f16_e32 v10, v70, v61
	v_sub_f16_e32 v2, v52, v2
	;; [unrolled: 1-line block ×4, first 2 shown]
	v_pack_b32_f16 v6, v10, v12
	v_pack_b32_f16 v2, v2, v3
	ds_write2_b32 v54, v6, v2 offset0:180 offset1:210
	v_sub_f16_e32 v2, v5, v7
	v_sub_f16_e32 v1, v1, v11
	;; [unrolled: 1-line block ×4, first 2 shown]
	v_pack_b32_f16 v0, v2, v0
	v_pack_b32_f16 v1, v1, v3
	v_add_u32_e32 v2, 0x200, v54
	ds_write2_b32 v2, v0, v1 offset0:112 offset1:142
	v_lshlrev_b32_e32 v0, 1, v16
	v_mov_b32_e32 v1, 0
	v_lshlrev_b64 v[2:3], 2, v[0:1]
	v_mov_b32_e32 v12, s9
	v_add_co_u32_e64 v2, s[0:1], s8, v2
	v_addc_co_u32_e64 v3, s[0:1], v12, v3, s[0:1]
	s_waitcnt lgkmcnt(0)
	s_barrier
	global_load_dwordx2 v[8:9], v[2:3], off offset:1188
	v_lshlrev_b32_e32 v4, 1, v20
	v_mov_b32_e32 v5, v1
	v_lshlrev_b64 v[4:5], 2, v[4:5]
	v_lshlrev_b32_e32 v6, 1, v34
	v_add_co_u32_e64 v4, s[0:1], s8, v4
	v_addc_co_u32_e64 v5, s[0:1], v12, v5, s[0:1]
	global_load_dwordx2 v[10:11], v[4:5], off offset:1188
	v_mov_b32_e32 v7, v1
	v_lshlrev_b64 v[6:7], 2, v[6:7]
	v_subrev_u32_e32 v13, 30, v16
	v_add_co_u32_e64 v6, s[0:1], s8, v6
	v_addc_co_u32_e64 v7, s[0:1], v12, v7, s[0:1]
	v_cmp_gt_u32_e64 s[0:1], 30, v16
	v_cndmask_b32_e64 v13, v13, v23, s[0:1]
	global_load_dwordx2 v[52:53], v[6:7], off offset:1188
	v_lshlrev_b32_e32 v14, 1, v13
	v_mov_b32_e32 v15, v1
	v_lshlrev_b64 v[14:15], 2, v[14:15]
	ds_read2_b32 v[54:55], v49 offset0:132 offset1:222
	v_add_co_u32_e64 v14, s[0:1], s8, v14
	v_addc_co_u32_e64 v15, s[0:1], v12, v15, s[0:1]
	global_load_dwordx2 v[56:57], v[14:15], off offset:1188
	v_add_u32_e32 v14, 0x78, v0
	v_mov_b32_e32 v15, v1
	v_lshlrev_b64 v[14:15], 2, v[14:15]
	ds_read2_b32 v[58:59], v48 offset0:8 offset1:98
	v_add_co_u32_e64 v14, s[0:1], s8, v14
	v_addc_co_u32_e64 v15, s[0:1], v12, v15, s[0:1]
	global_load_dwordx2 v[60:61], v[14:15], off offset:1188
	s_waitcnt lgkmcnt(1)
	v_lshrrev_b32_e32 v51, 16, v54
	v_add_u32_e32 v0, 0x12c, v0
	s_mov_b32 s5, 0xbaee
	v_lshlrev_b32_e32 v13, 2, v13
	s_add_u32 s6, s8, 0x2a24
	s_addc_u32 s7, s9, 0
	s_waitcnt vmcnt(4)
	v_mul_f16_sdwa v14, v8, v54 dst_sel:DWORD dst_unused:UNUSED_PAD src0_sel:WORD_1 src1_sel:DWORD
	v_fma_f16 v68, v8, v51, v14
	v_mul_f16_sdwa v51, v8, v51 dst_sel:DWORD dst_unused:UNUSED_PAD src0_sel:WORD_1 src1_sel:DWORD
	v_lshlrev_b64 v[14:15], 2, v[0:1]
	v_fma_f16 v69, v8, v54, -v51
	s_waitcnt lgkmcnt(0)
	v_lshrrev_b32_e32 v0, 16, v58
	v_mul_f16_sdwa v8, v9, v58 dst_sel:DWORD dst_unused:UNUSED_PAD src0_sel:WORD_1 src1_sel:DWORD
	v_fma_f16 v70, v9, v0, v8
	v_mul_f16_sdwa v0, v9, v0 dst_sel:DWORD dst_unused:UNUSED_PAD src0_sel:WORD_1 src1_sel:DWORD
	v_add_co_u32_e64 v14, s[0:1], s8, v14
	v_fma_f16 v71, v9, v58, -v0
	v_lshrrev_b32_e32 v0, 16, v55
	v_addc_co_u32_e64 v15, s[0:1], v12, v15, s[0:1]
	s_waitcnt vmcnt(3)
	v_mul_f16_sdwa v54, v0, v10 dst_sel:DWORD dst_unused:UNUSED_PAD src0_sel:DWORD src1_sel:WORD_1
	global_load_dwordx2 v[62:63], v[14:15], off offset:1188
	v_fma_f16 v72, v55, v10, -v54
	v_mul_f16_sdwa v54, v55, v10 dst_sel:DWORD dst_unused:UNUSED_PAD src0_sel:DWORD src1_sel:WORD_1
	v_lshrrev_b16_e32 v8, 2, v29
	v_fma_f16 v73, v0, v10, v54
	v_lshrrev_b16_e32 v0, 2, v33
	v_mul_u32_u24_e32 v8, 0x6d3b, v8
	v_mul_u32_u24_e32 v0, 0x6d3b, v0
	v_lshrrev_b32_e32 v15, 21, v8
	v_lshrrev_b32_e32 v0, 21, v0
	v_mul_lo_u16_e32 v8, 0x12c, v15
	v_mul_lo_u16_e32 v0, 0x12c, v0
	v_sub_u16_e32 v51, v29, v8
	v_sub_u16_e32 v0, v33, v0
	v_lshlrev_b32_e32 v8, 3, v51
	v_lshlrev_b32_e32 v58, 3, v0
	global_load_dwordx2 v[64:65], v8, s[8:9] offset:1188
	global_load_dwordx2 v[66:67], v58, s[8:9] offset:1188
	v_lshrrev_b16_e32 v8, 2, v31
	v_mul_u32_u24_e32 v8, 0x6d3b, v8
	v_lshrrev_b32_e32 v8, 21, v8
	v_mul_lo_u16_e32 v8, 0x12c, v8
	v_sub_u16_e32 v14, v31, v8
	v_lshlrev_b32_e32 v8, 3, v14
	global_load_dwordx2 v[8:9], v8, s[8:9] offset:1188
	v_lshrrev_b32_e32 v10, 16, v59
	v_mul_f16_sdwa v58, v10, v11 dst_sel:DWORD dst_unused:UNUSED_PAD src0_sel:DWORD src1_sel:WORD_1
	v_fma_f16 v74, v59, v11, -v58
	v_lshrrev_b16_e32 v58, 2, v22
	v_mul_u32_u24_e32 v58, 0x6d3b, v58
	v_lshrrev_b32_e32 v58, 21, v58
	v_mul_lo_u16_e32 v58, 0x12c, v58
	v_sub_u16_e32 v76, v22, v58
	v_lshlrev_b32_e32 v58, 3, v76
	v_mul_f16_sdwa v75, v59, v11 dst_sel:DWORD dst_unused:UNUSED_PAD src0_sel:DWORD src1_sel:WORD_1
	global_load_dwordx2 v[58:59], v58, s[8:9] offset:1188
	ds_read2_b32 v[54:55], v40 offset0:56 offset1:146
	v_fma_f16 v75, v10, v11, v75
	ds_read2_b32 v[10:11], v35 offset0:60 offset1:150
	v_add_f16_e32 v93, v69, v71
	v_sub_f16_e32 v102, v68, v70
	s_waitcnt lgkmcnt(1)
	v_lshrrev_b32_e32 v77, 16, v54
	s_waitcnt vmcnt(7)
	v_mul_f16_sdwa v78, v54, v52 dst_sel:DWORD dst_unused:UNUSED_PAD src0_sel:DWORD src1_sel:WORD_1
	v_fma_f16 v78, v77, v52, v78
	v_mul_f16_sdwa v77, v77, v52 dst_sel:DWORD dst_unused:UNUSED_PAD src0_sel:DWORD src1_sel:WORD_1
	v_fma_f16 v54, v54, v52, -v77
	s_waitcnt lgkmcnt(0)
	v_lshrrev_b32_e32 v52, 16, v10
	v_mul_f16_sdwa v77, v10, v53 dst_sel:DWORD dst_unused:UNUSED_PAD src0_sel:DWORD src1_sel:WORD_1
	v_fma_f16 v77, v52, v53, v77
	v_mul_f16_sdwa v52, v52, v53 dst_sel:DWORD dst_unused:UNUSED_PAD src0_sel:DWORD src1_sel:WORD_1
	v_fma_f16 v79, v10, v53, -v52
	v_lshrrev_b32_e32 v10, 16, v55
	s_waitcnt vmcnt(6)
	v_mul_f16_sdwa v52, v10, v56 dst_sel:DWORD dst_unused:UNUSED_PAD src0_sel:DWORD src1_sel:WORD_1
	v_fma_f16 v80, v55, v56, -v52
	v_mul_f16_sdwa v52, v55, v56 dst_sel:DWORD dst_unused:UNUSED_PAD src0_sel:DWORD src1_sel:WORD_1
	v_fma_f16 v55, v10, v56, v52
	v_lshrrev_b32_e32 v10, 16, v11
	ds_read2_b32 v[52:53], v32 offset0:108 offset1:198
	v_mul_f16_sdwa v56, v10, v57 dst_sel:DWORD dst_unused:UNUSED_PAD src0_sel:DWORD src1_sel:WORD_1
	v_fma_f16 v56, v11, v57, -v56
	v_mul_f16_sdwa v11, v11, v57 dst_sel:DWORD dst_unused:UNUSED_PAD src0_sel:DWORD src1_sel:WORD_1
	v_fma_f16 v57, v10, v57, v11
	ds_read2_b32 v[10:11], v30 offset0:112 offset1:202
	s_waitcnt lgkmcnt(1)
	v_lshrrev_b32_e32 v81, 16, v52
	s_waitcnt vmcnt(5)
	v_mul_f16_sdwa v82, v52, v60 dst_sel:DWORD dst_unused:UNUSED_PAD src0_sel:DWORD src1_sel:WORD_1
	v_fma_f16 v82, v81, v60, v82
	v_mul_f16_sdwa v81, v81, v60 dst_sel:DWORD dst_unused:UNUSED_PAD src0_sel:DWORD src1_sel:WORD_1
	v_fma_f16 v60, v52, v60, -v81
	s_waitcnt lgkmcnt(0)
	v_lshrrev_b32_e32 v52, 16, v10
	v_mul_f16_sdwa v81, v10, v61 dst_sel:DWORD dst_unused:UNUSED_PAD src0_sel:DWORD src1_sel:WORD_1
	v_fma_f16 v81, v52, v61, v81
	v_mul_f16_sdwa v52, v52, v61 dst_sel:DWORD dst_unused:UNUSED_PAD src0_sel:DWORD src1_sel:WORD_1
	v_fma_f16 v61, v10, v61, -v52
	v_lshrrev_b32_e32 v10, 16, v53
	v_cmp_lt_u32_e64 s[0:1], 29, v16
	v_mul_u32_u24_e32 v15, 0xe10, v15
	v_lshlrev_b32_e32 v51, 2, v51
	v_add3_u32 v15, 0, v15, v51
	v_lshl_add_u32 v14, v14, 2, 0
	v_lshl_add_u32 v0, v0, 2, 0
	s_waitcnt vmcnt(4)
	v_mul_f16_sdwa v52, v10, v62 dst_sel:DWORD dst_unused:UNUSED_PAD src0_sel:DWORD src1_sel:WORD_1
	v_fma_f16 v83, v53, v62, -v52
	v_mul_f16_sdwa v52, v53, v62 dst_sel:DWORD dst_unused:UNUSED_PAD src0_sel:DWORD src1_sel:WORD_1
	v_fma_f16 v62, v10, v62, v52
	v_lshrrev_b32_e32 v10, 16, v11
	ds_read2_b32 v[52:53], v28 offset0:160 offset1:250
	v_mul_f16_sdwa v84, v10, v63 dst_sel:DWORD dst_unused:UNUSED_PAD src0_sel:DWORD src1_sel:WORD_1
	v_fma_f16 v84, v11, v63, -v84
	v_mul_f16_sdwa v11, v11, v63 dst_sel:DWORD dst_unused:UNUSED_PAD src0_sel:DWORD src1_sel:WORD_1
	v_fma_f16 v63, v10, v63, v11
	ds_read2_b32 v[10:11], v26 offset0:36 offset1:126
	s_waitcnt lgkmcnt(1)
	v_lshrrev_b32_e32 v85, 16, v52
	s_waitcnt vmcnt(3)
	v_mul_f16_sdwa v86, v52, v64 dst_sel:DWORD dst_unused:UNUSED_PAD src0_sel:DWORD src1_sel:WORD_1
	v_fma_f16 v86, v85, v64, v86
	v_mul_f16_sdwa v85, v85, v64 dst_sel:DWORD dst_unused:UNUSED_PAD src0_sel:DWORD src1_sel:WORD_1
	v_fma_f16 v64, v52, v64, -v85
	s_waitcnt lgkmcnt(0)
	v_lshrrev_b32_e32 v52, 16, v10
	v_mul_f16_sdwa v85, v10, v65 dst_sel:DWORD dst_unused:UNUSED_PAD src0_sel:DWORD src1_sel:WORD_1
	v_fma_f16 v85, v52, v65, v85
	v_mul_f16_sdwa v52, v52, v65 dst_sel:DWORD dst_unused:UNUSED_PAD src0_sel:DWORD src1_sel:WORD_1
	v_fma_f16 v65, v10, v65, -v52
	v_lshrrev_b32_e32 v10, 16, v53
	s_waitcnt vmcnt(1)
	v_mul_f16_sdwa v52, v10, v8 dst_sel:DWORD dst_unused:UNUSED_PAD src0_sel:DWORD src1_sel:WORD_1
	v_fma_f16 v87, v53, v8, -v52
	v_mul_f16_sdwa v52, v53, v8 dst_sel:DWORD dst_unused:UNUSED_PAD src0_sel:DWORD src1_sel:WORD_1
	v_fma_f16 v88, v10, v8, v52
	v_lshrrev_b32_e32 v8, 16, v11
	ds_read2_b32 v[52:53], v24 offset0:84 offset1:174
	v_mul_f16_sdwa v10, v8, v9 dst_sel:DWORD dst_unused:UNUSED_PAD src0_sel:DWORD src1_sel:WORD_1
	v_fma_f16 v89, v11, v9, -v10
	v_mul_f16_sdwa v10, v11, v9 dst_sel:DWORD dst_unused:UNUSED_PAD src0_sel:DWORD src1_sel:WORD_1
	v_fma_f16 v90, v8, v9, v10
	ds_read2_b32 v[8:9], v21 offset0:88 offset1:178
	s_waitcnt lgkmcnt(1)
	v_lshrrev_b32_e32 v10, 16, v52
	v_mul_f16_sdwa v11, v52, v66 dst_sel:DWORD dst_unused:UNUSED_PAD src0_sel:DWORD src1_sel:WORD_1
	v_fma_f16 v91, v10, v66, v11
	v_mul_f16_sdwa v10, v10, v66 dst_sel:DWORD dst_unused:UNUSED_PAD src0_sel:DWORD src1_sel:WORD_1
	v_fma_f16 v52, v52, v66, -v10
	s_waitcnt lgkmcnt(0)
	v_lshrrev_b32_e32 v10, 16, v8
	v_mul_f16_sdwa v11, v8, v67 dst_sel:DWORD dst_unused:UNUSED_PAD src0_sel:DWORD src1_sel:WORD_1
	v_fma_f16 v66, v10, v67, v11
	v_mul_f16_sdwa v10, v10, v67 dst_sel:DWORD dst_unused:UNUSED_PAD src0_sel:DWORD src1_sel:WORD_1
	v_fma_f16 v67, v8, v67, -v10
	v_lshrrev_b32_e32 v8, 16, v53
	s_waitcnt vmcnt(0)
	v_mul_f16_sdwa v10, v8, v58 dst_sel:DWORD dst_unused:UNUSED_PAD src0_sel:DWORD src1_sel:WORD_1
	v_fma_f16 v92, v53, v58, -v10
	v_mul_f16_sdwa v10, v53, v58 dst_sel:DWORD dst_unused:UNUSED_PAD src0_sel:DWORD src1_sel:WORD_1
	v_fma_f16 v53, v8, v58, v10
	v_lshrrev_b32_e32 v8, 16, v9
	v_mul_f16_sdwa v10, v8, v59 dst_sel:DWORD dst_unused:UNUSED_PAD src0_sel:DWORD src1_sel:WORD_1
	v_fma_f16 v58, v9, v59, -v10
	v_mul_f16_sdwa v9, v9, v59 dst_sel:DWORD dst_unused:UNUSED_PAD src0_sel:DWORD src1_sel:WORD_1
	v_fma_f16 v59, v8, v59, v9
	v_lshl_add_u32 v11, v25, 2, 0
	v_lshl_add_u32 v10, v27, 2, 0
	;; [unrolled: 1-line block ×3, first 2 shown]
	ds_read_b32 v94, v36
	ds_read_b32 v95, v50
	;; [unrolled: 1-line block ×6, first 2 shown]
	s_waitcnt lgkmcnt(5)
	v_fma_f16 v93, v93, -0.5, v94
	v_fma_f16 v103, v102, s4, v93
	v_fma_f16 v93, v102, s5, v93
	v_lshrrev_b32_e32 v102, 16, v94
	v_add_f16_e32 v104, v102, v68
	v_add_f16_e32 v68, v68, v70
	;; [unrolled: 1-line block ×3, first 2 shown]
	v_fma_f16 v68, v68, -0.5, v102
	v_add_f16_e32 v70, v94, v69
	v_sub_f16_e32 v69, v69, v71
	v_add_f16_e32 v70, v70, v71
	v_fma_f16 v71, v69, s5, v68
	v_fma_f16 v68, v69, s4, v68
	v_add_f16_e32 v69, v72, v74
	s_waitcnt lgkmcnt(4)
	v_fma_f16 v69, v69, -0.5, v95
	v_sub_f16_e32 v94, v73, v75
	v_fma_f16 v102, v94, s4, v69
	v_fma_f16 v69, v94, s5, v69
	v_lshrrev_b32_e32 v94, 16, v95
	v_add_f16_e32 v105, v94, v73
	v_add_f16_e32 v73, v73, v75
	;; [unrolled: 1-line block ×3, first 2 shown]
	v_fma_f16 v73, v73, -0.5, v94
	v_add_f16_e32 v75, v95, v72
	v_sub_f16_e32 v72, v72, v74
	v_add_f16_e32 v75, v75, v74
	v_fma_f16 v74, v72, s5, v73
	v_fma_f16 v72, v72, s4, v73
	v_add_f16_e32 v73, v54, v79
	s_waitcnt lgkmcnt(3)
	v_fma_f16 v73, v73, -0.5, v96
	v_sub_f16_e32 v94, v78, v77
	v_fma_f16 v95, v94, s4, v73
	v_fma_f16 v73, v94, s5, v73
	v_lshrrev_b32_e32 v94, 16, v96
	v_lshl_add_u32 v8, v33, 2, 0
	ds_read_b32 v100, v46
	ds_read_b32 v101, v8
	v_add_f16_e32 v106, v94, v78
	v_add_f16_e32 v106, v106, v77
	;; [unrolled: 1-line block ×3, first 2 shown]
	v_fma_f16 v77, v77, -0.5, v94
	v_add_f16_e32 v78, v96, v54
	v_sub_f16_e32 v54, v54, v79
	v_add_f16_e32 v78, v78, v79
	v_fma_f16 v79, v54, s5, v77
	v_fma_f16 v54, v54, s4, v77
	v_add_f16_e32 v77, v80, v56
	s_waitcnt lgkmcnt(1)
	v_fma_f16 v77, v77, -0.5, v100
	v_sub_f16_e32 v94, v55, v57
	v_fma_f16 v96, v94, s4, v77
	v_fma_f16 v77, v94, s5, v77
	v_lshrrev_b32_e32 v94, 16, v100
	v_add_f16_e32 v107, v94, v55
	v_add_f16_e32 v107, v107, v57
	;; [unrolled: 1-line block ×4, first 2 shown]
	v_fma_f16 v55, v55, -0.5, v94
	v_add_f16_e32 v57, v57, v56
	v_sub_f16_e32 v56, v80, v56
	v_fma_f16 v80, v56, s5, v55
	v_fma_f16 v55, v56, s4, v55
	v_pack_b32_f16 v56, v70, v104
	ds_read_b32 v70, v45
	ds_read_b32 v94, v44
	s_waitcnt lgkmcnt(0)
	s_barrier
	ds_write_b32 v36, v56
	v_pack_b32_f16 v56, v103, v71
	ds_write_b32 v36, v56 offset:1200
	v_pack_b32_f16 v56, v93, v68
	ds_write_b32 v36, v56 offset:2400
	v_pack_b32_f16 v56, v75, v105
	ds_write_b32 v50, v56
	v_pack_b32_f16 v56, v102, v74
	ds_write_b32 v50, v56 offset:1200
	v_pack_b32_f16 v56, v69, v72
	v_pack_b32_f16 v54, v73, v54
	ds_write_b32 v50, v56 offset:2400
	ds_write_b32 v47, v54 offset:2400
	v_mov_b32_e32 v54, 0xe10
	v_pack_b32_f16 v56, v78, v106
	v_cndmask_b32_e64 v54, 0, v54, s[0:1]
	ds_write_b32 v47, v56
	v_pack_b32_f16 v56, v95, v79
	v_add3_u32 v13, 0, v54, v13
	v_pack_b32_f16 v54, v57, v107
	ds_write_b32 v47, v56 offset:1200
	ds_write_b32 v13, v54
	v_pack_b32_f16 v54, v96, v80
	ds_write_b32 v13, v54 offset:1200
	v_pack_b32_f16 v54, v77, v55
	ds_write_b32 v13, v54 offset:2400
	v_lshrrev_b32_e32 v54, 16, v97
	v_add_f16_e32 v13, v97, v60
	v_add_f16_e32 v55, v54, v82
	;; [unrolled: 1-line block ×4, first 2 shown]
	v_lshrrev_b32_e32 v56, 16, v98
	v_pack_b32_f16 v13, v13, v55
	v_add_f16_e32 v55, v98, v83
	v_add_f16_e32 v57, v56, v62
	;; [unrolled: 1-line block ×4, first 2 shown]
	v_pack_b32_f16 v55, v55, v57
	v_add_u32_e32 v57, 0xe00, v36
	ds_write2_b32 v57, v13, v55 offset0:64 offset1:154
	v_add_f16_e32 v57, v82, v81
	v_add_f16_e32 v13, v60, v61
	v_fma_f16 v54, v57, -0.5, v54
	v_sub_f16_e32 v57, v60, v61
	v_add_f16_e32 v60, v83, v84
	v_sub_f16_e32 v61, v62, v63
	v_add_f16_e32 v62, v62, v63
	v_fma_f16 v13, v13, -0.5, v97
	v_sub_f16_e32 v55, v82, v81
	v_fma_f16 v60, v60, -0.5, v98
	v_fma_f16 v56, v62, -0.5, v56
	v_sub_f16_e32 v62, v83, v84
	v_fma_f16 v63, v55, s4, v13
	v_fma_f16 v68, v57, s5, v54
	;; [unrolled: 1-line block ×7, first 2 shown]
	v_pack_b32_f16 v13, v13, v54
	v_pack_b32_f16 v54, v55, v56
	ds_write2_b32 v24, v13, v54 offset0:24 offset1:114
	v_add_f16_e32 v13, v64, v65
	v_fma_f16 v13, v13, -0.5, v70
	v_sub_f16_e32 v54, v86, v85
	v_fma_f16 v55, v54, s4, v13
	v_fma_f16 v13, v54, s5, v13
	v_lshrrev_b32_e32 v54, 16, v70
	v_add_f16_e32 v57, v86, v85
	v_pack_b32_f16 v63, v63, v68
	v_fma_f16 v68, v61, s4, v60
	v_add_f16_e32 v56, v54, v86
	v_fma_f16 v54, v57, -0.5, v54
	v_add_f16_e32 v57, v70, v64
	v_sub_f16_e32 v60, v64, v65
	v_add_f16_e32 v56, v56, v85
	v_add_f16_e32 v57, v57, v65
	v_fma_f16 v61, v60, s5, v54
	v_fma_f16 v54, v60, s4, v54
	v_pack_b32_f16 v68, v68, v69
	v_pack_b32_f16 v51, v57, v56
	;; [unrolled: 1-line block ×3, first 2 shown]
	ds_write2_b32 v32, v63, v68 offset0:108 offset1:198
	ds_write_b32 v15, v51
	v_pack_b32_f16 v51, v55, v61
	ds_write_b32 v15, v13 offset:2400
	v_add_f16_e32 v13, v87, v89
	ds_write_b32 v15, v51 offset:1200
	v_fma_f16 v13, v13, -0.5, v99
	v_sub_f16_e32 v15, v88, v90
	v_fma_f16 v51, v15, s4, v13
	v_fma_f16 v13, v15, s5, v13
	v_lshrrev_b32_e32 v15, 16, v99
	v_add_f16_e32 v55, v88, v90
	v_add_f16_e32 v54, v15, v88
	v_fma_f16 v15, v55, -0.5, v15
	v_sub_f16_e32 v56, v87, v89
	v_add_f16_e32 v55, v99, v87
	v_fma_f16 v57, v56, s5, v15
	v_fma_f16 v15, v56, s4, v15
	v_add_f16_e32 v54, v54, v90
	v_add_f16_e32 v55, v55, v89
	v_pack_b32_f16 v13, v13, v15
	v_pack_b32_f16 v54, v55, v54
	;; [unrolled: 1-line block ×3, first 2 shown]
	ds_write_b32 v14, v13 offset:9600
	v_add_f16_e32 v13, v52, v67
	ds_write_b32 v14, v54 offset:7200
	ds_write_b32 v14, v51 offset:8400
	v_fma_f16 v13, v13, -0.5, v101
	v_sub_f16_e32 v14, v91, v66
	v_fma_f16 v15, v14, s4, v13
	v_fma_f16 v13, v14, s5, v13
	v_lshrrev_b32_e32 v14, 16, v101
	v_add_f16_e32 v54, v91, v66
	v_add_f16_e32 v51, v14, v91
	v_fma_f16 v14, v54, -0.5, v14
	v_add_f16_e32 v54, v101, v52
	v_sub_f16_e32 v52, v52, v67
	v_add_f16_e32 v51, v51, v66
	v_add_f16_e32 v54, v54, v67
	v_fma_f16 v55, v52, s5, v14
	v_fma_f16 v14, v52, s4, v14
	v_pack_b32_f16 v51, v54, v51
	v_pack_b32_f16 v15, v15, v55
	;; [unrolled: 1-line block ×3, first 2 shown]
	ds_write_b32 v0, v51 offset:7200
	ds_write_b32 v0, v15 offset:8400
	;; [unrolled: 1-line block ×3, first 2 shown]
	v_add_f16_e32 v0, v92, v58
	v_fma_f16 v0, v0, -0.5, v94
	v_sub_f16_e32 v13, v53, v59
	v_fma_f16 v14, v13, s4, v0
	v_fma_f16 v0, v13, s5, v0
	v_lshrrev_b32_e32 v13, 16, v94
	v_add_f16_e32 v51, v53, v59
	v_add_f16_e32 v15, v13, v53
	v_fma_f16 v13, v51, -0.5, v13
	v_add_f16_e32 v51, v94, v92
	v_sub_f16_e32 v52, v92, v58
	v_add_f16_e32 v15, v15, v59
	v_add_f16_e32 v51, v51, v58
	v_fma_f16 v53, v52, s5, v13
	v_fma_f16 v13, v52, s4, v13
	v_pack_b32_f16 v15, v51, v15
	v_lshl_add_u32 v51, v76, 2, 0
	v_pack_b32_f16 v14, v14, v53
	v_pack_b32_f16 v0, v0, v13
	ds_write_b32 v51, v15 offset:7200
	ds_write_b32 v51, v14 offset:8400
	ds_write_b32 v51, v0 offset:9600
	s_waitcnt lgkmcnt(0)
	s_barrier
	global_load_dwordx2 v[13:14], v[2:3], off offset:3588
	global_load_dwordx2 v[51:52], v[4:5], off offset:3588
	;; [unrolled: 1-line block ×3, first 2 shown]
	v_lshlrev_b32_e32 v0, 1, v23
	v_lshlrev_b64 v[2:3], 2, v[0:1]
	ds_read2_b32 v[6:7], v49 offset0:132 offset1:222
	v_add_co_u32_e64 v2, s[0:1], s8, v2
	v_addc_co_u32_e64 v3, s[0:1], v12, v3, s[0:1]
	global_load_dwordx2 v[2:3], v[2:3], off offset:3588
	ds_read2_b32 v[48:49], v48 offset0:8 offset1:98
	v_lshlrev_b32_e32 v0, 1, v25
	v_lshlrev_b64 v[4:5], 2, v[0:1]
	s_waitcnt lgkmcnt(1)
	v_lshrrev_b32_e32 v0, 16, v6
	v_add_co_u32_e64 v4, s[0:1], s8, v4
	v_addc_co_u32_e64 v5, s[0:1], v12, v5, s[0:1]
	global_load_dwordx2 v[4:5], v[4:5], off offset:3588
	s_waitcnt vmcnt(4)
	v_mul_f16_sdwa v15, v13, v6 dst_sel:DWORD dst_unused:UNUSED_PAD src0_sel:WORD_1 src1_sel:DWORD
	v_fma_f16 v15, v13, v0, v15
	v_mul_f16_sdwa v0, v13, v0 dst_sel:DWORD dst_unused:UNUSED_PAD src0_sel:WORD_1 src1_sel:DWORD
	v_fma_f16 v61, v13, v6, -v0
	s_waitcnt lgkmcnt(0)
	v_lshrrev_b32_e32 v0, 16, v48
	v_mul_f16_sdwa v6, v14, v48 dst_sel:DWORD dst_unused:UNUSED_PAD src0_sel:WORD_1 src1_sel:DWORD
	v_fma_f16 v62, v14, v0, v6
	v_mul_f16_sdwa v0, v14, v0 dst_sel:DWORD dst_unused:UNUSED_PAD src0_sel:WORD_1 src1_sel:DWORD
	v_fma_f16 v63, v14, v48, -v0
	v_lshlrev_b32_e32 v0, 1, v27
	v_lshlrev_b64 v[13:14], 2, v[0:1]
	v_lshlrev_b32_e32 v0, 1, v29
	v_add_co_u32_e64 v13, s[0:1], s8, v13
	v_addc_co_u32_e64 v14, s[0:1], v12, v14, s[0:1]
	global_load_dwordx2 v[13:14], v[13:14], off offset:3588
	v_lshlrev_b64 v[55:56], 2, v[0:1]
	v_lshlrev_b32_e32 v0, 1, v31
	v_add_co_u32_e64 v55, s[0:1], s8, v55
	v_addc_co_u32_e64 v56, s[0:1], v12, v56, s[0:1]
	global_load_dwordx2 v[55:56], v[55:56], off offset:3588
	v_lshlrev_b64 v[57:58], 2, v[0:1]
	ds_read_u16 v6, v36 offset:3962
	ds_read_b32 v64, v50
	ds_read_b32 v65, v47
	;; [unrolled: 1-line block ×7, first 2 shown]
	v_add_co_u32_e64 v57, s[0:1], s8, v57
	v_addc_co_u32_e64 v58, s[0:1], v12, v58, s[0:1]
	global_load_dwordx2 v[57:58], v[57:58], off offset:3588
	s_waitcnt vmcnt(6)
	v_mul_f16_sdwa v0, v51, v7 dst_sel:DWORD dst_unused:UNUSED_PAD src0_sel:WORD_1 src1_sel:DWORD
	s_waitcnt lgkmcnt(7)
	v_fma_f16 v72, v6, v51, v0
	v_lshlrev_b32_e32 v0, 1, v33
	v_lshlrev_b64 v[59:60], 2, v[0:1]
	v_mul_f16_sdwa v48, v6, v51 dst_sel:DWORD dst_unused:UNUSED_PAD src0_sel:DWORD src1_sel:WORD_1
	v_fma_f16 v71, v51, v7, -v48
	v_lshrrev_b32_e32 v51, 16, v49
	v_add_co_u32_e64 v59, s[0:1], s8, v59
	v_addc_co_u32_e64 v60, s[0:1], v12, v60, s[0:1]
	global_load_dwordx2 v[59:60], v[59:60], off offset:3588
	v_mul_f16_sdwa v0, v51, v52 dst_sel:DWORD dst_unused:UNUSED_PAD src0_sel:DWORD src1_sel:WORD_1
	ds_read2_b32 v[6:7], v40 offset0:56 offset1:146
	v_fma_f16 v40, v49, v52, -v0
	v_lshlrev_b32_e32 v0, 1, v22
	v_mul_f16_sdwa v73, v49, v52 dst_sel:DWORD dst_unused:UNUSED_PAD src0_sel:DWORD src1_sel:WORD_1
	v_lshlrev_b64 v[48:49], 2, v[0:1]
	v_fma_f16 v0, v51, v52, v73
	v_add_co_u32_e64 v48, s[0:1], s8, v48
	v_addc_co_u32_e64 v49, s[0:1], v12, v49, s[0:1]
	global_load_dwordx2 v[48:49], v[48:49], off offset:3588
	ds_read2_b32 v[51:52], v35 offset0:60 offset1:150
	s_waitcnt lgkmcnt(1)
	v_lshrrev_b32_e32 v12, 16, v6
	s_waitcnt vmcnt(7)
	v_mul_f16_sdwa v35, v6, v53 dst_sel:DWORD dst_unused:UNUSED_PAD src0_sel:DWORD src1_sel:WORD_1
	v_fma_f16 v35, v12, v53, v35
	v_mul_f16_sdwa v12, v12, v53 dst_sel:DWORD dst_unused:UNUSED_PAD src0_sel:DWORD src1_sel:WORD_1
	v_fma_f16 v12, v6, v53, -v12
	s_waitcnt lgkmcnt(0)
	v_lshrrev_b32_e32 v6, 16, v51
	v_mul_f16_sdwa v53, v51, v54 dst_sel:DWORD dst_unused:UNUSED_PAD src0_sel:DWORD src1_sel:WORD_1
	v_fma_f16 v53, v6, v54, v53
	v_mul_f16_sdwa v6, v6, v54 dst_sel:DWORD dst_unused:UNUSED_PAD src0_sel:DWORD src1_sel:WORD_1
	v_fma_f16 v51, v51, v54, -v6
	v_lshrrev_b32_e32 v6, 16, v7
	s_waitcnt vmcnt(6)
	v_mul_f16_sdwa v54, v6, v2 dst_sel:DWORD dst_unused:UNUSED_PAD src0_sel:DWORD src1_sel:WORD_1
	v_fma_f16 v54, v7, v2, -v54
	v_mul_f16_sdwa v7, v7, v2 dst_sel:DWORD dst_unused:UNUSED_PAD src0_sel:DWORD src1_sel:WORD_1
	v_fma_f16 v73, v6, v2, v7
	v_lshrrev_b32_e32 v2, 16, v52
	ds_read2_b32 v[6:7], v32 offset0:108 offset1:198
	v_mul_f16_sdwa v32, v2, v3 dst_sel:DWORD dst_unused:UNUSED_PAD src0_sel:DWORD src1_sel:WORD_1
	v_fma_f16 v32, v52, v3, -v32
	v_mul_f16_sdwa v52, v52, v3 dst_sel:DWORD dst_unused:UNUSED_PAD src0_sel:DWORD src1_sel:WORD_1
	v_fma_f16 v52, v2, v3, v52
	ds_read2_b32 v[2:3], v30 offset0:112 offset1:202
	s_waitcnt lgkmcnt(1)
	v_lshrrev_b32_e32 v74, 16, v6
	s_waitcnt vmcnt(5)
	v_mul_f16_sdwa v30, v6, v4 dst_sel:DWORD dst_unused:UNUSED_PAD src0_sel:DWORD src1_sel:WORD_1
	v_fma_f16 v30, v74, v4, v30
	v_mul_f16_sdwa v74, v74, v4 dst_sel:DWORD dst_unused:UNUSED_PAD src0_sel:DWORD src1_sel:WORD_1
	v_fma_f16 v6, v6, v4, -v74
	s_waitcnt lgkmcnt(0)
	v_lshrrev_b32_e32 v4, 16, v2
	v_mul_f16_sdwa v74, v2, v5 dst_sel:DWORD dst_unused:UNUSED_PAD src0_sel:DWORD src1_sel:WORD_1
	v_fma_f16 v74, v4, v5, v74
	v_mul_f16_sdwa v4, v4, v5 dst_sel:DWORD dst_unused:UNUSED_PAD src0_sel:DWORD src1_sel:WORD_1
	v_fma_f16 v75, v2, v5, -v4
	v_lshrrev_b32_e32 v2, 16, v7
	v_sub_f16_e32 v84, v73, v52
	v_cmp_ne_u32_e64 s[0:1], 0, v16
	s_waitcnt vmcnt(4)
	v_mul_f16_sdwa v4, v2, v13 dst_sel:DWORD dst_unused:UNUSED_PAD src0_sel:DWORD src1_sel:WORD_1
	v_fma_f16 v76, v7, v13, -v4
	v_mul_f16_sdwa v4, v7, v13 dst_sel:DWORD dst_unused:UNUSED_PAD src0_sel:DWORD src1_sel:WORD_1
	v_fma_f16 v7, v2, v13, v4
	v_lshrrev_b32_e32 v2, 16, v3
	ds_read2_b32 v[4:5], v28 offset0:160 offset1:250
	v_mul_f16_sdwa v13, v2, v14 dst_sel:DWORD dst_unused:UNUSED_PAD src0_sel:DWORD src1_sel:WORD_1
	v_fma_f16 v13, v3, v14, -v13
	v_mul_f16_sdwa v3, v3, v14 dst_sel:DWORD dst_unused:UNUSED_PAD src0_sel:DWORD src1_sel:WORD_1
	v_fma_f16 v14, v2, v14, v3
	ds_read2_b32 v[2:3], v26 offset0:36 offset1:126
	s_waitcnt lgkmcnt(1)
	v_lshrrev_b32_e32 v28, 16, v4
	s_waitcnt vmcnt(3)
	v_mul_f16_sdwa v26, v4, v55 dst_sel:DWORD dst_unused:UNUSED_PAD src0_sel:DWORD src1_sel:WORD_1
	v_fma_f16 v26, v28, v55, v26
	v_mul_f16_sdwa v28, v28, v55 dst_sel:DWORD dst_unused:UNUSED_PAD src0_sel:DWORD src1_sel:WORD_1
	v_fma_f16 v28, v4, v55, -v28
	s_waitcnt lgkmcnt(0)
	v_lshrrev_b32_e32 v4, 16, v2
	v_mul_f16_sdwa v55, v2, v56 dst_sel:DWORD dst_unused:UNUSED_PAD src0_sel:DWORD src1_sel:WORD_1
	v_fma_f16 v55, v4, v56, v55
	v_mul_f16_sdwa v4, v4, v56 dst_sel:DWORD dst_unused:UNUSED_PAD src0_sel:DWORD src1_sel:WORD_1
	v_fma_f16 v56, v2, v56, -v4
	v_lshrrev_b32_e32 v2, 16, v5
	s_waitcnt vmcnt(2)
	v_mul_f16_sdwa v4, v2, v57 dst_sel:DWORD dst_unused:UNUSED_PAD src0_sel:DWORD src1_sel:WORD_1
	v_fma_f16 v77, v5, v57, -v4
	v_mul_f16_sdwa v4, v5, v57 dst_sel:DWORD dst_unused:UNUSED_PAD src0_sel:DWORD src1_sel:WORD_1
	v_fma_f16 v57, v2, v57, v4
	v_lshrrev_b32_e32 v2, 16, v3
	ds_read2_b32 v[4:5], v24 offset0:84 offset1:174
	v_mul_f16_sdwa v24, v2, v58 dst_sel:DWORD dst_unused:UNUSED_PAD src0_sel:DWORD src1_sel:WORD_1
	v_fma_f16 v24, v3, v58, -v24
	v_mul_f16_sdwa v3, v3, v58 dst_sel:DWORD dst_unused:UNUSED_PAD src0_sel:DWORD src1_sel:WORD_1
	v_fma_f16 v58, v2, v58, v3
	ds_read2_b32 v[2:3], v21 offset0:88 offset1:178
	s_waitcnt lgkmcnt(1)
	v_lshrrev_b32_e32 v78, 16, v4
	s_waitcnt vmcnt(1)
	v_mul_f16_sdwa v21, v4, v59 dst_sel:DWORD dst_unused:UNUSED_PAD src0_sel:DWORD src1_sel:WORD_1
	v_fma_f16 v21, v78, v59, v21
	v_mul_f16_sdwa v78, v78, v59 dst_sel:DWORD dst_unused:UNUSED_PAD src0_sel:DWORD src1_sel:WORD_1
	v_fma_f16 v4, v4, v59, -v78
	s_waitcnt lgkmcnt(0)
	v_lshrrev_b32_e32 v59, 16, v2
	v_mul_f16_sdwa v78, v2, v60 dst_sel:DWORD dst_unused:UNUSED_PAD src0_sel:DWORD src1_sel:WORD_1
	v_fma_f16 v78, v59, v60, v78
	v_mul_f16_sdwa v59, v59, v60 dst_sel:DWORD dst_unused:UNUSED_PAD src0_sel:DWORD src1_sel:WORD_1
	v_fma_f16 v2, v2, v60, -v59
	v_lshrrev_b32_e32 v59, 16, v5
	s_waitcnt vmcnt(0)
	v_mul_f16_sdwa v60, v59, v48 dst_sel:DWORD dst_unused:UNUSED_PAD src0_sel:DWORD src1_sel:WORD_1
	v_fma_f16 v60, v5, v48, -v60
	v_mul_f16_sdwa v5, v5, v48 dst_sel:DWORD dst_unused:UNUSED_PAD src0_sel:DWORD src1_sel:WORD_1
	v_fma_f16 v5, v59, v48, v5
	v_lshrrev_b32_e32 v48, 16, v3
	v_mul_f16_sdwa v59, v48, v49 dst_sel:DWORD dst_unused:UNUSED_PAD src0_sel:DWORD src1_sel:WORD_1
	v_fma_f16 v59, v3, v49, -v59
	v_mul_f16_sdwa v3, v3, v49 dst_sel:DWORD dst_unused:UNUSED_PAD src0_sel:DWORD src1_sel:WORD_1
	v_fma_f16 v3, v48, v49, v3
	v_add_f16_e32 v48, v61, v63
	v_fma_f16 v48, v48, -0.5, v70
	v_sub_f16_e32 v49, v15, v62
	v_fma_f16 v79, v49, s4, v48
	v_fma_f16 v48, v49, s5, v48
	v_lshrrev_b32_e32 v49, 16, v70
	v_add_f16_e32 v80, v49, v15
	v_add_f16_e32 v15, v15, v62
	v_fma_f16 v15, v15, -0.5, v49
	v_add_f16_e32 v49, v70, v61
	v_sub_f16_e32 v61, v61, v63
	v_add_f16_e32 v80, v80, v62
	v_fma_f16 v62, v61, s5, v15
	v_fma_f16 v15, v61, s4, v15
	v_add_f16_e32 v61, v71, v40
	v_add_f16_e32 v49, v49, v63
	v_fma_f16 v61, v61, -0.5, v64
	v_sub_f16_e32 v63, v72, v0
	v_fma_f16 v70, v63, s4, v61
	v_fma_f16 v61, v63, s5, v61
	v_lshrrev_b32_e32 v63, 16, v64
	v_add_f16_e32 v81, v63, v72
	v_add_f16_e32 v81, v81, v0
	;; [unrolled: 1-line block ×3, first 2 shown]
	v_fma_f16 v0, v0, -0.5, v63
	v_add_f16_e32 v63, v64, v71
	v_add_f16_e32 v63, v63, v40
	v_sub_f16_e32 v40, v71, v40
	v_fma_f16 v64, v40, s5, v0
	v_fma_f16 v0, v40, s4, v0
	v_add_f16_e32 v40, v12, v51
	v_fma_f16 v40, v40, -0.5, v65
	v_sub_f16_e32 v71, v35, v53
	v_fma_f16 v72, v71, s4, v40
	v_fma_f16 v40, v71, s5, v40
	v_lshrrev_b32_e32 v71, 16, v65
	v_add_f16_e32 v82, v71, v35
	v_add_f16_e32 v82, v82, v53
	;; [unrolled: 1-line block ×4, first 2 shown]
	ds_read_b32 v65, v46
	v_fma_f16 v35, v35, -0.5, v71
	v_sub_f16_e32 v12, v12, v51
	v_add_f16_e32 v53, v53, v51
	v_fma_f16 v51, v12, s5, v35
	v_fma_f16 v12, v12, s4, v35
	v_add_f16_e32 v35, v54, v32
	s_waitcnt lgkmcnt(0)
	v_fma_f16 v35, v35, -0.5, v65
	v_pack_b32_f16 v49, v49, v80
	v_pack_b32_f16 v15, v48, v15
	ds_read_b32 v71, v45
	ds_read_b32 v83, v44
	v_fma_f16 v85, v84, s4, v35
	v_fma_f16 v35, v84, s5, v35
	v_lshrrev_b32_e32 v84, 16, v65
	s_waitcnt lgkmcnt(0)
	s_barrier
	ds_write_b32 v36, v49
	v_pack_b32_f16 v49, v79, v62
	ds_write_b32 v36, v15 offset:7200
	v_pack_b32_f16 v15, v63, v81
	v_pack_b32_f16 v0, v61, v0
	v_add_f16_e32 v86, v84, v73
	ds_write_b32 v36, v49 offset:3600
	ds_write_b32 v50, v15
	v_pack_b32_f16 v15, v70, v64
	ds_write_b32 v50, v0 offset:7200
	v_pack_b32_f16 v0, v53, v82
	v_add_f16_e32 v86, v86, v52
	v_add_f16_e32 v52, v73, v52
	;; [unrolled: 1-line block ×3, first 2 shown]
	ds_write_b32 v50, v15 offset:3600
	ds_write_b32 v47, v0
	v_pack_b32_f16 v0, v72, v51
	v_fma_f16 v52, v52, -0.5, v84
	v_add_f16_e32 v65, v65, v32
	v_sub_f16_e32 v32, v54, v32
	ds_write_b32 v47, v0 offset:3600
	v_pack_b32_f16 v0, v40, v12
	v_fma_f16 v54, v32, s5, v52
	ds_write_b32 v47, v0 offset:7200
	v_pack_b32_f16 v0, v65, v86
	v_fma_f16 v32, v32, s4, v52
	ds_write_b32 v46, v0
	v_pack_b32_f16 v0, v85, v54
	ds_write_b32 v46, v0 offset:3600
	v_pack_b32_f16 v0, v35, v32
	ds_write_b32 v46, v0 offset:7200
	v_add_f16_e32 v0, v6, v75
	v_fma_f16 v0, v0, -0.5, v66
	v_sub_f16_e32 v12, v30, v74
	v_fma_f16 v15, v12, s4, v0
	v_fma_f16 v0, v12, s5, v0
	v_lshrrev_b32_e32 v12, 16, v66
	v_add_f16_e32 v32, v12, v30
	v_add_f16_e32 v30, v30, v74
	v_fma_f16 v12, v30, -0.5, v12
	v_add_f16_e32 v30, v66, v6
	v_sub_f16_e32 v6, v6, v75
	v_fma_f16 v35, v6, s5, v12
	v_fma_f16 v6, v6, s4, v12
	v_add_f16_e32 v12, v76, v13
	v_fma_f16 v12, v12, -0.5, v67
	v_sub_f16_e32 v40, v7, v14
	v_fma_f16 v46, v40, s4, v12
	v_fma_f16 v12, v40, s5, v12
	v_lshrrev_b32_e32 v40, 16, v67
	v_add_f16_e32 v48, v40, v7
	v_add_f16_e32 v48, v48, v14
	;; [unrolled: 1-line block ×4, first 2 shown]
	v_fma_f16 v7, v7, -0.5, v40
	v_add_f16_e32 v14, v14, v13
	v_sub_f16_e32 v13, v76, v13
	v_fma_f16 v40, v13, s5, v7
	v_fma_f16 v7, v13, s4, v7
	v_add_f16_e32 v13, v28, v56
	v_fma_f16 v13, v13, -0.5, v71
	v_sub_f16_e32 v49, v26, v55
	v_fma_f16 v51, v49, s4, v13
	v_fma_f16 v13, v49, s5, v13
	v_lshrrev_b32_e32 v49, 16, v71
	v_add_f16_e32 v52, v49, v26
	v_add_f16_e32 v26, v26, v55
	;; [unrolled: 1-line block ×4, first 2 shown]
	v_fma_f16 v26, v26, -0.5, v49
	v_add_f16_e32 v49, v71, v28
	v_sub_f16_e32 v28, v28, v56
	v_pack_b32_f16 v0, v0, v6
	v_fma_f16 v53, v28, s5, v26
	v_fma_f16 v26, v28, s4, v26
	v_pack_b32_f16 v28, v30, v32
	v_pack_b32_f16 v15, v15, v35
	ds_write_b32 v11, v0 offset:7200
	v_pack_b32_f16 v0, v14, v48
	ds_write_b32 v11, v28
	ds_write_b32 v11, v15 offset:3600
	ds_write_b32 v10, v0
	v_pack_b32_f16 v0, v46, v40
	v_add_f16_e32 v52, v52, v55
	v_add_f16_e32 v49, v49, v56
	ds_write_b32 v10, v0 offset:3600
	v_pack_b32_f16 v0, v12, v7
	ds_write_b32 v10, v0 offset:7200
	v_pack_b32_f16 v0, v49, v52
	ds_write_b32 v45, v0
	v_pack_b32_f16 v0, v51, v53
	ds_write_b32 v45, v0 offset:3600
	v_pack_b32_f16 v0, v13, v26
	ds_write_b32 v45, v0 offset:7200
	v_add_f16_e32 v0, v77, v24
	v_fma_f16 v0, v0, -0.5, v68
	v_sub_f16_e32 v6, v57, v58
	v_fma_f16 v7, v6, s4, v0
	v_fma_f16 v0, v6, s5, v0
	v_lshrrev_b32_e32 v6, 16, v68
	v_add_f16_e32 v13, v57, v58
	v_add_f16_e32 v12, v6, v57
	v_fma_f16 v6, v13, -0.5, v6
	v_sub_f16_e32 v14, v77, v24
	v_add_f16_e32 v13, v68, v77
	v_fma_f16 v15, v14, s5, v6
	v_fma_f16 v6, v14, s4, v6
	v_add_f16_e32 v14, v4, v2
	v_add_f16_e32 v13, v13, v24
	v_fma_f16 v14, v14, -0.5, v69
	v_sub_f16_e32 v24, v21, v78
	v_fma_f16 v26, v24, s4, v14
	v_fma_f16 v14, v24, s5, v14
	v_lshrrev_b32_e32 v24, 16, v69
	v_add_f16_e32 v28, v24, v21
	v_add_f16_e32 v21, v21, v78
	v_fma_f16 v21, v21, -0.5, v24
	v_add_f16_e32 v24, v69, v4
	v_add_f16_e32 v24, v24, v2
	v_sub_f16_e32 v2, v4, v2
	v_fma_f16 v4, v2, s5, v21
	v_fma_f16 v2, v2, s4, v21
	v_add_f16_e32 v21, v60, v59
	v_fma_f16 v21, v21, -0.5, v83
	v_sub_f16_e32 v30, v5, v3
	v_add_f16_e32 v12, v12, v58
	v_add_f16_e32 v28, v28, v78
	v_fma_f16 v32, v30, s4, v21
	v_fma_f16 v21, v30, s5, v21
	v_lshrrev_b32_e32 v30, 16, v83
	v_pack_b32_f16 v0, v0, v6
	v_add_f16_e32 v35, v30, v5
	v_pack_b32_f16 v12, v13, v12
	v_pack_b32_f16 v7, v7, v15
	ds_write_b32 v9, v0 offset:7200
	v_pack_b32_f16 v0, v24, v28
	v_add_f16_e32 v35, v35, v3
	v_add_f16_e32 v3, v5, v3
	;; [unrolled: 1-line block ×3, first 2 shown]
	ds_write_b32 v9, v12
	ds_write_b32 v9, v7 offset:3600
	ds_write_b32 v8, v0
	v_pack_b32_f16 v0, v26, v4
	v_fma_f16 v3, v3, -0.5, v30
	v_add_f16_e32 v5, v5, v59
	v_sub_f16_e32 v30, v60, v59
	ds_write_b32 v8, v0 offset:3600
	v_pack_b32_f16 v0, v14, v2
	v_fma_f16 v40, v30, s5, v3
	ds_write_b32 v8, v0 offset:7200
	v_pack_b32_f16 v0, v5, v35
	v_fma_f16 v3, v30, s4, v3
	ds_write_b32 v44, v0
	v_pack_b32_f16 v0, v32, v40
	ds_write_b32 v44, v0 offset:3600
	v_pack_b32_f16 v0, v21, v3
	ds_write_b32 v44, v0 offset:7200
	s_waitcnt lgkmcnt(0)
	s_barrier
	ds_read_b32 v13, v36
	v_sub_u32_e32 v4, 0, v17
                                        ; implicit-def: $vgpr7
                                        ; implicit-def: $vgpr6
                                        ; implicit-def: $vgpr12
                                        ; implicit-def: $vgpr2_vgpr3
	s_and_saveexec_b64 s[4:5], s[0:1]
	s_xor_b64 s[4:5], exec, s[4:5]
	s_cbranch_execz .LBB0_15
; %bb.14:
	v_mov_b32_e32 v17, v1
	v_lshlrev_b64 v[0:1], 2, v[16:17]
	v_mov_b32_e32 v2, s7
	v_add_co_u32_e64 v0, s[0:1], s6, v0
	v_addc_co_u32_e64 v1, s[0:1], v2, v1, s[0:1]
	global_load_dword v0, v[0:1], off
	ds_read_b32 v1, v4 offset:10800
	s_waitcnt lgkmcnt(0)
	v_sub_f16_e32 v5, v13, v1
	v_add_f16_e32 v2, v1, v13
	v_add_f16_sdwa v3, v1, v13 dst_sel:DWORD dst_unused:UNUSED_PAD src0_sel:WORD_1 src1_sel:WORD_1
	v_sub_f16_sdwa v1, v13, v1 dst_sel:DWORD dst_unused:UNUSED_PAD src0_sel:WORD_1 src1_sel:WORD_1
	v_mul_f16_e32 v5, 0.5, v5
	v_mul_f16_e32 v3, 0.5, v3
	;; [unrolled: 1-line block ×3, first 2 shown]
                                        ; implicit-def: $vgpr13
	s_waitcnt vmcnt(0)
	v_lshrrev_b32_e32 v6, 16, v0
	v_mul_f16_e32 v7, v6, v5
	v_fma_f16 v12, v3, v6, v1
	v_fma_f16 v1, v3, v6, -v1
	v_fma_f16 v6, v2, 0.5, v7
	v_fma_f16 v2, v2, 0.5, -v7
	v_fma_f16 v7, -v0, v5, v1
	v_fma_f16 v1, v0, v3, v6
	v_fma_f16 v6, -v0, v3, v2
	v_mov_b32_e32 v2, v16
	v_fma_f16 v12, -v0, v5, v12
	ds_write_b16 v36, v1
	v_mov_b32_e32 v3, v17
.LBB0_15:
	s_or_saveexec_b64 s[0:1], s[4:5]
	v_sub_u32_e32 v1, 0, v41
	v_sub_u32_e32 v0, 0, v43
	v_sub_u32_e32 v5, 0, v42
	s_xor_b64 exec, exec, s[0:1]
	s_cbranch_execz .LBB0_17
; %bb.16:
	v_mov_b32_e32 v12, 0
	ds_read_u16 v7, v12 offset:5402
	v_mov_b32_e32 v2, 0
	s_waitcnt lgkmcnt(1)
	v_add_f16_sdwa v14, v13, v13 dst_sel:DWORD dst_unused:UNUSED_PAD src0_sel:WORD_1 src1_sel:DWORD
	v_sub_f16_sdwa v6, v13, v13 dst_sel:DWORD dst_unused:UNUSED_PAD src0_sel:DWORD src1_sel:WORD_1
	v_mov_b32_e32 v3, 0
	s_waitcnt lgkmcnt(0)
	v_xor_b32_e32 v7, 0x8000, v7
	ds_write_b16 v12, v7 offset:5402
	v_mov_b32_e32 v7, 0
	ds_write_b16 v36, v14
.LBB0_17:
	s_or_b64 exec, exec, s[0:1]
	v_mov_b32_e32 v21, 0
	s_waitcnt lgkmcnt(0)
	v_lshlrev_b64 v[13:14], 2, v[20:21]
	v_mov_b32_e32 v15, s7
	v_add_co_u32_e64 v13, s[0:1], s6, v13
	v_addc_co_u32_e64 v14, s[0:1], v15, v14, s[0:1]
	global_load_dword v17, v[13:14], off
	v_mov_b32_e32 v35, v21
	ds_write_b16 v36, v12 offset:2
	v_lshlrev_b64 v[12:13], 2, v[34:35]
	v_mov_b32_e32 v14, s7
	v_add_co_u32_e64 v12, s[0:1], s6, v12
	v_addc_co_u32_e64 v13, s[0:1], v14, v13, s[0:1]
	global_load_dword v35, v[12:13], off
	s_mov_b32 s5, 0x5040100
	v_perm_b32 v6, v7, v6, s5
	v_mov_b32_e32 v24, v21
	ds_write_b32 v4, v6 offset:10800
	v_lshlrev_b64 v[6:7], 2, v[23:24]
	v_mov_b32_e32 v20, s7
	v_add_co_u32_e64 v6, s[0:1], s6, v6
	v_mov_b32_e32 v30, v21
	v_addc_co_u32_e64 v7, s[0:1], v20, v7, s[0:1]
	v_lshlrev_b64 v[23:24], 2, v[29:30]
	ds_read_b32 v29, v50
	ds_read_b32 v30, v4 offset:10440
	global_load_dword v20, v[6:7], off
	v_mov_b32_e32 v26, v21
	v_lshlrev_b64 v[12:13], 2, v[25:26]
	v_mov_b32_e32 v28, v21
	v_mov_b32_e32 v40, s7
	v_lshlrev_b64 v[14:15], 2, v[27:28]
	v_add_co_u32_e64 v6, s[0:1], s6, v12
	v_addc_co_u32_e64 v7, s[0:1], v40, v13, s[0:1]
	v_mov_b32_e32 v41, s7
	v_add_co_u32_e64 v12, s[0:1], s6, v14
	v_mov_b32_e32 v32, v21
	v_addc_co_u32_e64 v13, s[0:1], v41, v15, s[0:1]
	v_mov_b32_e32 v42, s7
	v_lshlrev_b64 v[25:26], 2, v[31:32]
	v_add_co_u32_e64 v14, s[0:1], s6, v23
	v_mov_b32_e32 v34, v21
	v_addc_co_u32_e64 v15, s[0:1], v42, v24, s[0:1]
	v_mov_b32_e32 v43, s7
	v_lshlrev_b64 v[27:28], 2, v[33:34]
	v_add_co_u32_e64 v23, s[0:1], s6, v25
	v_addc_co_u32_e64 v24, s[0:1], v43, v26, s[0:1]
	v_mov_b32_e32 v44, s7
	v_add_co_u32_e64 v25, s[0:1], s6, v27
	v_addc_co_u32_e64 v26, s[0:1], v44, v28, s[0:1]
	global_load_dword v27, v[6:7], off
	global_load_dword v28, v[12:13], off
	global_load_dword v31, v[14:15], off
	global_load_dword v32, v[23:24], off
	global_load_dword v33, v[25:26], off
	s_mov_b32 s4, 0xffff
	s_waitcnt lgkmcnt(0)
	v_pk_add_f16 v6, v29, v30 neg_lo:[0,1] neg_hi:[0,1]
	v_pk_add_f16 v7, v29, v30
	v_bfi_b32 v12, s4, v6, v7
	v_bfi_b32 v6, s4, v7, v6
	v_pk_mul_f16 v7, v12, 0.5 op_sel_hi:[1,0]
	v_pk_mul_f16 v6, v6, 0.5 op_sel_hi:[1,0]
	v_add_u32_e32 v1, v39, v1
	v_mov_b32_e32 v23, v21
	s_movk_i32 s5, 0x1000
	v_add_u32_e32 v5, v37, v5
	s_waitcnt vmcnt(7)
	v_pk_fma_f16 v12, v17, v7, v6 op_sel:[1,0,0]
	v_pk_mul_f16 v13, v17, v7 op_sel_hi:[0,1]
	v_pk_fma_f16 v14, v17, v7, v6 op_sel:[1,0,0] neg_lo:[1,0,0] neg_hi:[1,0,0]
	v_pk_fma_f16 v6, v17, v7, v6 op_sel:[1,0,0] neg_lo:[0,0,1] neg_hi:[0,0,1]
	v_pk_add_f16 v7, v12, v13 op_sel:[0,1] op_sel_hi:[1,0]
	v_pk_add_f16 v12, v12, v13 op_sel:[0,1] op_sel_hi:[1,0] neg_lo:[0,1] neg_hi:[0,1]
	v_pk_add_f16 v14, v14, v13 op_sel:[0,1] op_sel_hi:[1,0] neg_lo:[0,1] neg_hi:[0,1]
	;; [unrolled: 1-line block ×3, first 2 shown]
	v_bfi_b32 v7, s4, v7, v12
	v_bfi_b32 v6, s4, v14, v6
	ds_write_b32 v50, v7
	ds_write_b32 v4, v6 offset:10440
	ds_read_b32 v6, v47
	ds_read_b32 v7, v4 offset:10080
	s_waitcnt lgkmcnt(0)
	v_pk_add_f16 v12, v6, v7 neg_lo:[0,1] neg_hi:[0,1]
	v_pk_add_f16 v6, v6, v7
	v_bfi_b32 v7, s4, v12, v6
	v_bfi_b32 v6, s4, v6, v12
	v_pk_mul_f16 v7, v7, 0.5 op_sel_hi:[1,0]
	v_pk_mul_f16 v6, v6, 0.5 op_sel_hi:[1,0]
	s_waitcnt vmcnt(6)
	v_pk_fma_f16 v12, v35, v7, v6 op_sel:[1,0,0]
	v_pk_mul_f16 v13, v35, v7 op_sel_hi:[0,1]
	v_pk_add_f16 v14, v12, v13 op_sel:[0,1] op_sel_hi:[1,0]
	v_pk_add_f16 v12, v12, v13 op_sel:[0,1] op_sel_hi:[1,0] neg_lo:[0,1] neg_hi:[0,1]
	v_bfi_b32 v12, s4, v14, v12
	ds_write_b32 v47, v12
	v_pk_fma_f16 v12, v35, v7, v6 op_sel:[1,0,0] neg_lo:[1,0,0] neg_hi:[1,0,0]
	v_pk_fma_f16 v6, v35, v7, v6 op_sel:[1,0,0] neg_lo:[0,0,1] neg_hi:[0,0,1]
	v_pk_add_f16 v12, v12, v13 op_sel:[0,1] op_sel_hi:[1,0] neg_lo:[0,1] neg_hi:[0,1]
	v_pk_add_f16 v6, v6, v13 op_sel:[0,1] op_sel_hi:[1,0] neg_lo:[0,1] neg_hi:[0,1]
	v_bfi_b32 v6, s4, v12, v6
	ds_write_b32 v4, v6 offset:10080
	ds_read_b32 v6, v1
	ds_read_b32 v7, v4 offset:9720
	s_waitcnt lgkmcnt(0)
	v_pk_add_f16 v12, v6, v7 neg_lo:[0,1] neg_hi:[0,1]
	v_pk_add_f16 v6, v6, v7
	v_bfi_b32 v7, s4, v12, v6
	v_bfi_b32 v6, s4, v6, v12
	v_pk_mul_f16 v7, v7, 0.5 op_sel_hi:[1,0]
	v_pk_mul_f16 v6, v6, 0.5 op_sel_hi:[1,0]
	s_waitcnt vmcnt(5)
	v_pk_fma_f16 v12, v20, v7, v6 op_sel:[1,0,0]
	v_pk_mul_f16 v13, v20, v7 op_sel_hi:[0,1]
	v_pk_add_f16 v14, v12, v13 op_sel:[0,1] op_sel_hi:[1,0]
	v_pk_add_f16 v12, v12, v13 op_sel:[0,1] op_sel_hi:[1,0] neg_lo:[0,1] neg_hi:[0,1]
	v_bfi_b32 v12, s4, v14, v12
	ds_write_b32 v1, v12
	v_pk_fma_f16 v1, v20, v7, v6 op_sel:[1,0,0] neg_lo:[1,0,0] neg_hi:[1,0,0]
	v_pk_fma_f16 v6, v20, v7, v6 op_sel:[1,0,0] neg_lo:[0,0,1] neg_hi:[0,0,1]
	v_pk_add_f16 v1, v1, v13 op_sel:[0,1] op_sel_hi:[1,0] neg_lo:[0,1] neg_hi:[0,1]
	v_pk_add_f16 v6, v6, v13 op_sel:[0,1] op_sel_hi:[1,0] neg_lo:[0,1] neg_hi:[0,1]
	v_bfi_b32 v1, s4, v1, v6
	ds_write_b32 v4, v1 offset:9720
	ds_read_b32 v1, v11
	ds_read_b32 v6, v4 offset:9360
	v_mov_b32_e32 v14, s7
	s_waitcnt lgkmcnt(0)
	v_pk_add_f16 v7, v1, v6 neg_lo:[0,1] neg_hi:[0,1]
	v_pk_add_f16 v1, v1, v6
	v_bfi_b32 v6, s4, v7, v1
	v_bfi_b32 v1, s4, v1, v7
	v_pk_mul_f16 v6, v6, 0.5 op_sel_hi:[1,0]
	v_pk_mul_f16 v1, v1, 0.5 op_sel_hi:[1,0]
	s_waitcnt vmcnt(4)
	v_pk_fma_f16 v7, v27, v6, v1 op_sel:[1,0,0]
	v_pk_mul_f16 v12, v27, v6 op_sel_hi:[0,1]
	v_pk_add_f16 v13, v7, v12 op_sel:[0,1] op_sel_hi:[1,0]
	v_pk_add_f16 v7, v7, v12 op_sel:[0,1] op_sel_hi:[1,0] neg_lo:[0,1] neg_hi:[0,1]
	v_bfi_b32 v7, s4, v13, v7
	ds_write_b32 v11, v7
	v_pk_fma_f16 v7, v27, v6, v1 op_sel:[1,0,0] neg_lo:[1,0,0] neg_hi:[1,0,0]
	v_pk_fma_f16 v1, v27, v6, v1 op_sel:[1,0,0] neg_lo:[0,0,1] neg_hi:[0,0,1]
	v_pk_add_f16 v7, v7, v12 op_sel:[0,1] op_sel_hi:[1,0] neg_lo:[0,1] neg_hi:[0,1]
	v_pk_add_f16 v1, v1, v12 op_sel:[0,1] op_sel_hi:[1,0] neg_lo:[0,1] neg_hi:[0,1]
	v_bfi_b32 v1, s4, v7, v1
	ds_write_b32 v4, v1 offset:9360
	ds_read_b32 v1, v10
	ds_read_b32 v6, v4 offset:9000
	s_waitcnt lgkmcnt(0)
	v_pk_add_f16 v7, v1, v6 neg_lo:[0,1] neg_hi:[0,1]
	v_pk_add_f16 v1, v1, v6
	v_bfi_b32 v6, s4, v7, v1
	v_bfi_b32 v1, s4, v1, v7
	v_pk_mul_f16 v6, v6, 0.5 op_sel_hi:[1,0]
	v_pk_mul_f16 v1, v1, 0.5 op_sel_hi:[1,0]
	s_waitcnt vmcnt(3)
	v_pk_fma_f16 v7, v28, v6, v1 op_sel:[1,0,0]
	v_pk_mul_f16 v11, v28, v6 op_sel_hi:[0,1]
	v_pk_add_f16 v12, v7, v11 op_sel:[0,1] op_sel_hi:[1,0]
	v_pk_add_f16 v7, v7, v11 op_sel:[0,1] op_sel_hi:[1,0] neg_lo:[0,1] neg_hi:[0,1]
	v_bfi_b32 v7, s4, v12, v7
	ds_write_b32 v10, v7
	v_pk_fma_f16 v7, v28, v6, v1 op_sel:[1,0,0] neg_lo:[1,0,0] neg_hi:[1,0,0]
	v_pk_fma_f16 v1, v28, v6, v1 op_sel:[1,0,0] neg_lo:[0,0,1] neg_hi:[0,0,1]
	v_pk_add_f16 v7, v7, v11 op_sel:[0,1] op_sel_hi:[1,0] neg_lo:[0,1] neg_hi:[0,1]
	v_pk_add_f16 v1, v1, v11 op_sel:[0,1] op_sel_hi:[1,0] neg_lo:[0,1] neg_hi:[0,1]
	v_bfi_b32 v1, s4, v7, v1
	ds_write_b32 v4, v1 offset:9000
	v_add_u32_e32 v6, v38, v0
	ds_read_b32 v0, v6
	ds_read_b32 v1, v4 offset:8640
	s_waitcnt lgkmcnt(0)
	v_pk_add_f16 v7, v0, v1 neg_lo:[0,1] neg_hi:[0,1]
	v_pk_add_f16 v0, v0, v1
	v_bfi_b32 v1, s4, v7, v0
	v_bfi_b32 v0, s4, v0, v7
	v_pk_mul_f16 v7, v1, 0.5 op_sel_hi:[1,0]
	v_pk_mul_f16 v10, v0, 0.5 op_sel_hi:[1,0]
	s_waitcnt vmcnt(2)
	v_pk_fma_f16 v0, v31, v7, v10 op_sel:[1,0,0]
	v_pk_mul_f16 v11, v31, v7 op_sel_hi:[0,1]
	v_pk_add_f16 v12, v0, v11 op_sel:[0,1] op_sel_hi:[1,0]
	v_pk_add_f16 v13, v0, v11 op_sel:[0,1] op_sel_hi:[1,0] neg_lo:[0,1] neg_hi:[0,1]
	v_lshlrev_b64 v[0:1], 2, v[22:23]
	v_add_co_u32_e64 v0, s[0:1], s6, v0
	v_addc_co_u32_e64 v1, s[0:1], v14, v1, s[0:1]
	global_load_dword v14, v[0:1], off
	v_bfi_b32 v0, s4, v12, v13
	ds_write_b32 v6, v0
	v_pk_fma_f16 v0, v31, v7, v10 op_sel:[1,0,0] neg_lo:[1,0,0] neg_hi:[1,0,0]
	v_pk_fma_f16 v1, v31, v7, v10 op_sel:[1,0,0] neg_lo:[0,0,1] neg_hi:[0,0,1]
	v_pk_add_f16 v0, v0, v11 op_sel:[0,1] op_sel_hi:[1,0] neg_lo:[0,1] neg_hi:[0,1]
	v_pk_add_f16 v1, v1, v11 op_sel:[0,1] op_sel_hi:[1,0] neg_lo:[0,1] neg_hi:[0,1]
	v_bfi_b32 v0, s4, v0, v1
	ds_write_b32 v4, v0 offset:8640
	ds_read_b32 v0, v9
	ds_read_b32 v1, v4 offset:8280
	s_waitcnt lgkmcnt(0)
	v_pk_add_f16 v6, v0, v1 neg_lo:[0,1] neg_hi:[0,1]
	v_pk_add_f16 v0, v0, v1
	v_bfi_b32 v7, s4, v6, v0
	v_bfi_b32 v6, s4, v0, v6
	v_lshlrev_b64 v[0:1], 2, v[2:3]
	v_mov_b32_e32 v3, s7
	v_add_co_u32_e64 v2, s[0:1], s6, v0
	v_addc_co_u32_e64 v3, s[0:1], v3, v1, s[0:1]
	global_load_dword v10, v[2:3], off offset:3600
	v_pk_mul_f16 v7, v7, 0.5 op_sel_hi:[1,0]
	v_pk_mul_f16 v6, v6, 0.5 op_sel_hi:[1,0]
	s_waitcnt vmcnt(3)
	v_pk_fma_f16 v11, v32, v7, v6 op_sel:[1,0,0]
	v_pk_mul_f16 v12, v32, v7 op_sel_hi:[0,1]
	v_pk_add_f16 v13, v11, v12 op_sel:[0,1] op_sel_hi:[1,0]
	v_pk_add_f16 v11, v11, v12 op_sel:[0,1] op_sel_hi:[1,0] neg_lo:[0,1] neg_hi:[0,1]
	v_bfi_b32 v11, s4, v13, v11
	ds_write_b32 v9, v11
	v_pk_fma_f16 v9, v32, v7, v6 op_sel:[1,0,0] neg_lo:[1,0,0] neg_hi:[1,0,0]
	v_pk_fma_f16 v6, v32, v7, v6 op_sel:[1,0,0] neg_lo:[0,0,1] neg_hi:[0,0,1]
	v_pk_add_f16 v9, v9, v12 op_sel:[0,1] op_sel_hi:[1,0] neg_lo:[0,1] neg_hi:[0,1]
	v_pk_add_f16 v6, v6, v12 op_sel:[0,1] op_sel_hi:[1,0] neg_lo:[0,1] neg_hi:[0,1]
	v_bfi_b32 v6, s4, v9, v6
	ds_write_b32 v4, v6 offset:8280
	ds_read_b32 v6, v8
	ds_read_b32 v7, v4 offset:7920
	global_load_dword v11, v[2:3], off offset:3960
	v_add_co_u32_e64 v2, s[0:1], s5, v2
	v_addc_co_u32_e64 v3, s[0:1], 0, v3, s[0:1]
	s_waitcnt lgkmcnt(0)
	v_pk_add_f16 v9, v6, v7 neg_lo:[0,1] neg_hi:[0,1]
	v_pk_add_f16 v6, v6, v7
	v_bfi_b32 v7, s4, v9, v6
	v_bfi_b32 v6, s4, v6, v9
	v_pk_mul_f16 v7, v7, 0.5 op_sel_hi:[1,0]
	v_pk_mul_f16 v6, v6, 0.5 op_sel_hi:[1,0]
	s_waitcnt vmcnt(3)
	v_pk_fma_f16 v9, v33, v7, v6 op_sel:[1,0,0]
	v_pk_mul_f16 v12, v33, v7 op_sel_hi:[0,1]
	v_pk_add_f16 v13, v9, v12 op_sel:[0,1] op_sel_hi:[1,0]
	v_pk_add_f16 v9, v9, v12 op_sel:[0,1] op_sel_hi:[1,0] neg_lo:[0,1] neg_hi:[0,1]
	v_bfi_b32 v9, s4, v13, v9
	ds_write_b32 v8, v9
	v_pk_fma_f16 v8, v33, v7, v6 op_sel:[1,0,0] neg_lo:[1,0,0] neg_hi:[1,0,0]
	v_pk_fma_f16 v6, v33, v7, v6 op_sel:[1,0,0] neg_lo:[0,0,1] neg_hi:[0,0,1]
	v_pk_add_f16 v8, v8, v12 op_sel:[0,1] op_sel_hi:[1,0] neg_lo:[0,1] neg_hi:[0,1]
	v_pk_add_f16 v6, v6, v12 op_sel:[0,1] op_sel_hi:[1,0] neg_lo:[0,1] neg_hi:[0,1]
	v_bfi_b32 v6, s4, v8, v6
	ds_write_b32 v4, v6 offset:7920
	ds_read_b32 v6, v5
	ds_read_b32 v7, v4 offset:7560
	global_load_dword v8, v[2:3], off offset:224
	s_waitcnt lgkmcnt(0)
	v_pk_add_f16 v9, v6, v7 neg_lo:[0,1] neg_hi:[0,1]
	v_pk_add_f16 v6, v6, v7
	v_bfi_b32 v7, s4, v9, v6
	v_bfi_b32 v6, s4, v6, v9
	v_pk_mul_f16 v7, v7, 0.5 op_sel_hi:[1,0]
	v_pk_mul_f16 v6, v6, 0.5 op_sel_hi:[1,0]
	s_waitcnt vmcnt(3)
	v_pk_fma_f16 v9, v14, v7, v6 op_sel:[1,0,0]
	v_pk_mul_f16 v12, v14, v7 op_sel_hi:[0,1]
	v_pk_add_f16 v13, v9, v12 op_sel:[0,1] op_sel_hi:[1,0]
	v_pk_add_f16 v9, v9, v12 op_sel:[0,1] op_sel_hi:[1,0] neg_lo:[0,1] neg_hi:[0,1]
	v_bfi_b32 v9, s4, v13, v9
	ds_write_b32 v5, v9
	v_pk_fma_f16 v5, v14, v7, v6 op_sel:[1,0,0] neg_lo:[1,0,0] neg_hi:[1,0,0]
	v_pk_fma_f16 v6, v14, v7, v6 op_sel:[1,0,0] neg_lo:[0,0,1] neg_hi:[0,0,1]
	v_pk_add_f16 v5, v5, v12 op_sel:[0,1] op_sel_hi:[1,0] neg_lo:[0,1] neg_hi:[0,1]
	v_pk_add_f16 v6, v6, v12 op_sel:[0,1] op_sel_hi:[1,0] neg_lo:[0,1] neg_hi:[0,1]
	v_bfi_b32 v5, s4, v5, v6
	ds_write_b32 v4, v5 offset:7560
	ds_read_b32 v5, v36 offset:3600
	ds_read_b32 v6, v4 offset:7200
	global_load_dword v7, v[2:3], off offset:584
	s_waitcnt lgkmcnt(0)
	v_pk_add_f16 v9, v5, v6 neg_lo:[0,1] neg_hi:[0,1]
	global_load_dword v2, v[2:3], off offset:944
	v_pk_add_f16 v5, v5, v6
	v_bfi_b32 v6, s4, v9, v5
	v_bfi_b32 v5, s4, v5, v9
	v_pk_mul_f16 v6, v6, 0.5 op_sel_hi:[1,0]
	v_pk_mul_f16 v5, v5, 0.5 op_sel_hi:[1,0]
	s_waitcnt vmcnt(4)
	v_pk_fma_f16 v3, v10, v6, v5 op_sel:[1,0,0]
	v_pk_mul_f16 v9, v10, v6 op_sel_hi:[0,1]
	v_pk_add_f16 v12, v3, v9 op_sel:[0,1] op_sel_hi:[1,0]
	v_pk_add_f16 v3, v3, v9 op_sel:[0,1] op_sel_hi:[1,0] neg_lo:[0,1] neg_hi:[0,1]
	v_bfi_b32 v3, s4, v12, v3
	ds_write_b32 v36, v3 offset:3600
	v_pk_fma_f16 v3, v10, v6, v5 op_sel:[1,0,0] neg_lo:[1,0,0] neg_hi:[1,0,0]
	v_pk_fma_f16 v5, v10, v6, v5 op_sel:[1,0,0] neg_lo:[0,0,1] neg_hi:[0,0,1]
	v_pk_add_f16 v3, v3, v9 op_sel:[0,1] op_sel_hi:[1,0] neg_lo:[0,1] neg_hi:[0,1]
	v_pk_add_f16 v5, v5, v9 op_sel:[0,1] op_sel_hi:[1,0] neg_lo:[0,1] neg_hi:[0,1]
	v_bfi_b32 v3, s4, v3, v5
	ds_write_b32 v4, v3 offset:7200
	ds_read_b32 v3, v36 offset:3960
	ds_read_b32 v5, v4 offset:6840
	s_waitcnt lgkmcnt(0)
	v_pk_add_f16 v6, v3, v5 neg_lo:[0,1] neg_hi:[0,1]
	v_pk_add_f16 v3, v3, v5
	v_bfi_b32 v5, s4, v6, v3
	v_bfi_b32 v3, s4, v3, v6
	v_pk_mul_f16 v5, v5, 0.5 op_sel_hi:[1,0]
	v_pk_mul_f16 v3, v3, 0.5 op_sel_hi:[1,0]
	s_waitcnt vmcnt(3)
	v_pk_fma_f16 v6, v11, v5, v3 op_sel:[1,0,0]
	v_pk_mul_f16 v9, v11, v5 op_sel_hi:[0,1]
	v_pk_add_f16 v10, v6, v9 op_sel:[0,1] op_sel_hi:[1,0]
	v_pk_add_f16 v6, v6, v9 op_sel:[0,1] op_sel_hi:[1,0] neg_lo:[0,1] neg_hi:[0,1]
	v_bfi_b32 v6, s4, v10, v6
	ds_write_b32 v36, v6 offset:3960
	v_pk_fma_f16 v6, v11, v5, v3 op_sel:[1,0,0] neg_lo:[1,0,0] neg_hi:[1,0,0]
	v_pk_fma_f16 v3, v11, v5, v3 op_sel:[1,0,0] neg_lo:[0,0,1] neg_hi:[0,0,1]
	v_pk_add_f16 v6, v6, v9 op_sel:[0,1] op_sel_hi:[1,0] neg_lo:[0,1] neg_hi:[0,1]
	v_pk_add_f16 v3, v3, v9 op_sel:[0,1] op_sel_hi:[1,0] neg_lo:[0,1] neg_hi:[0,1]
	v_bfi_b32 v3, s4, v6, v3
	ds_write_b32 v4, v3 offset:6840
	ds_read_b32 v3, v36 offset:4320
	ds_read_b32 v5, v4 offset:6480
	s_waitcnt lgkmcnt(0)
	v_pk_add_f16 v6, v3, v5 neg_lo:[0,1] neg_hi:[0,1]
	;; [unrolled: 22-line block ×4, first 2 shown]
	v_pk_add_f16 v3, v3, v5
	v_bfi_b32 v5, s4, v6, v3
	v_bfi_b32 v3, s4, v3, v6
	v_pk_mul_f16 v5, v5, 0.5 op_sel_hi:[1,0]
	v_pk_mul_f16 v3, v3, 0.5 op_sel_hi:[1,0]
	s_waitcnt vmcnt(0)
	v_pk_fma_f16 v6, v2, v5, v3 op_sel:[1,0,0]
	v_pk_mul_f16 v7, v2, v5 op_sel_hi:[0,1]
	v_pk_add_f16 v8, v6, v7 op_sel:[0,1] op_sel_hi:[1,0]
	v_pk_add_f16 v6, v6, v7 op_sel:[0,1] op_sel_hi:[1,0] neg_lo:[0,1] neg_hi:[0,1]
	v_bfi_b32 v6, s4, v8, v6
	ds_write_b32 v36, v6 offset:5040
	v_pk_fma_f16 v6, v2, v5, v3 op_sel:[1,0,0] neg_lo:[1,0,0] neg_hi:[1,0,0]
	v_pk_fma_f16 v2, v2, v5, v3 op_sel:[1,0,0] neg_lo:[0,0,1] neg_hi:[0,0,1]
	v_pk_add_f16 v6, v6, v7 op_sel:[0,1] op_sel_hi:[1,0] neg_lo:[0,1] neg_hi:[0,1]
	v_pk_add_f16 v2, v2, v7 op_sel:[0,1] op_sel_hi:[1,0] neg_lo:[0,1] neg_hi:[0,1]
	v_bfi_b32 v2, s4, v6, v2
	ds_write_b32 v4, v2 offset:5760
	s_waitcnt lgkmcnt(0)
	s_barrier
	s_and_saveexec_b64 s[0:1], vcc
	s_cbranch_execz .LBB0_20
; %bb.18:
	ds_read2_b32 v[4:5], v36 offset1:90
	v_mov_b32_e32 v2, s3
	v_add_co_u32_e32 v3, vcc, s2, v18
	v_add_u32_e32 v6, 0x200, v36
	v_addc_co_u32_e32 v2, vcc, v2, v19, vcc
	ds_read2_b32 v[6:7], v6 offset0:52 offset1:142
	v_add_co_u32_e32 v0, vcc, v3, v0
	v_add_u32_e32 v8, 0x400, v36
	v_addc_co_u32_e32 v1, vcc, v2, v1, vcc
	ds_read2_b32 v[8:9], v8 offset0:104 offset1:194
	s_waitcnt lgkmcnt(2)
	global_store_dword v[0:1], v4, off
	global_store_dword v[0:1], v5, off offset:360
	s_waitcnt lgkmcnt(1)
	global_store_dword v[0:1], v6, off offset:720
	global_store_dword v[0:1], v7, off offset:1080
	s_waitcnt lgkmcnt(0)
	global_store_dword v[0:1], v8, off offset:1440
	global_store_dword v[0:1], v9, off offset:1800
	v_add_u32_e32 v4, 0x800, v36
	ds_read2_b32 v[4:5], v4 offset0:28 offset1:118
	v_add_u32_e32 v6, 0xa00, v36
	ds_read2_b32 v[6:7], v6 offset0:80 offset1:170
	;; [unrolled: 2-line block ×3, first 2 shown]
	s_waitcnt lgkmcnt(2)
	global_store_dword v[0:1], v4, off offset:2160
	global_store_dword v[0:1], v5, off offset:2520
	s_waitcnt lgkmcnt(1)
	global_store_dword v[0:1], v6, off offset:2880
	global_store_dword v[0:1], v7, off offset:3240
	;; [unrolled: 3-line block ×3, first 2 shown]
	v_add_u32_e32 v4, 0x1000, v36
	ds_read2_b32 v[4:5], v4 offset0:56 offset1:146
	v_add_u32_e32 v8, 0x1200, v36
	ds_read2_b32 v[8:9], v8 offset0:108 offset1:198
	v_add_co_u32_e32 v6, vcc, s5, v0
	v_add_u32_e32 v10, 0x1400, v36
	v_addc_co_u32_e32 v7, vcc, 0, v1, vcc
	ds_read2_b32 v[10:11], v10 offset0:160 offset1:250
	s_waitcnt lgkmcnt(2)
	global_store_dword v[6:7], v4, off offset:224
	global_store_dword v[6:7], v5, off offset:584
	s_waitcnt lgkmcnt(1)
	global_store_dword v[6:7], v8, off offset:944
	global_store_dword v[6:7], v9, off offset:1304
	;; [unrolled: 3-line block ×3, first 2 shown]
	v_add_u32_e32 v4, 0x1800, v36
	ds_read2_b32 v[4:5], v4 offset0:84 offset1:174
	v_add_u32_e32 v8, 0x1c00, v36
	ds_read2_b32 v[8:9], v8 offset0:8 offset1:98
	;; [unrolled: 2-line block ×3, first 2 shown]
	s_waitcnt lgkmcnt(2)
	global_store_dword v[6:7], v4, off offset:2384
	global_store_dword v[6:7], v5, off offset:2744
	s_waitcnt lgkmcnt(1)
	global_store_dword v[6:7], v8, off offset:3104
	global_store_dword v[6:7], v9, off offset:3464
	s_waitcnt lgkmcnt(0)
	global_store_dword v[6:7], v10, off offset:3824
	v_add_u32_e32 v4, 0x2000, v36
	ds_read2_b32 v[4:5], v4 offset0:112 offset1:202
	s_movk_i32 s0, 0x2000
	v_add_u32_e32 v6, 0x2400, v36
	v_add_co_u32_e32 v0, vcc, s0, v0
	ds_read2_b32 v[6:7], v6 offset0:36 offset1:126
	v_addc_co_u32_e32 v1, vcc, 0, v1, vcc
	v_add_u32_e32 v8, 0x2600, v36
	s_movk_i32 s0, 0x59
	ds_read2_b32 v[8:9], v8 offset0:88 offset1:178
	v_cmp_eq_u32_e32 vcc, s0, v16
	global_store_dword v[0:1], v11, off offset:88
	s_waitcnt lgkmcnt(2)
	global_store_dword v[0:1], v4, off offset:448
	global_store_dword v[0:1], v5, off offset:808
	s_waitcnt lgkmcnt(1)
	global_store_dword v[0:1], v6, off offset:1168
	;; [unrolled: 3-line block ×3, first 2 shown]
	global_store_dword v[0:1], v9, off offset:2248
	s_and_b64 exec, exec, vcc
	s_cbranch_execz .LBB0_20
; %bb.19:
	v_mov_b32_e32 v0, 0
	ds_read_b32 v4, v0 offset:10800
	v_add_co_u32_e32 v0, vcc, 0x2000, v3
	v_addc_co_u32_e32 v1, vcc, 0, v2, vcc
	s_waitcnt lgkmcnt(0)
	global_store_dword v[0:1], v4, off offset:2608
.LBB0_20:
	s_endpgm
	.section	.rodata,"a",@progbits
	.p2align	6, 0x0
	.amdhsa_kernel fft_rtc_fwd_len2700_factors_3_10_10_3_3_wgs_90_tpt_90_halfLds_half_ip_CI_unitstride_sbrr_R2C_dirReg
		.amdhsa_group_segment_fixed_size 0
		.amdhsa_private_segment_fixed_size 0
		.amdhsa_kernarg_size 88
		.amdhsa_user_sgpr_count 6
		.amdhsa_user_sgpr_private_segment_buffer 1
		.amdhsa_user_sgpr_dispatch_ptr 0
		.amdhsa_user_sgpr_queue_ptr 0
		.amdhsa_user_sgpr_kernarg_segment_ptr 1
		.amdhsa_user_sgpr_dispatch_id 0
		.amdhsa_user_sgpr_flat_scratch_init 0
		.amdhsa_user_sgpr_private_segment_size 0
		.amdhsa_uses_dynamic_stack 0
		.amdhsa_system_sgpr_private_segment_wavefront_offset 0
		.amdhsa_system_sgpr_workgroup_id_x 1
		.amdhsa_system_sgpr_workgroup_id_y 0
		.amdhsa_system_sgpr_workgroup_id_z 0
		.amdhsa_system_sgpr_workgroup_info 0
		.amdhsa_system_vgpr_workitem_id 0
		.amdhsa_next_free_vgpr 128
		.amdhsa_next_free_sgpr 22
		.amdhsa_reserve_vcc 1
		.amdhsa_reserve_flat_scratch 0
		.amdhsa_float_round_mode_32 0
		.amdhsa_float_round_mode_16_64 0
		.amdhsa_float_denorm_mode_32 3
		.amdhsa_float_denorm_mode_16_64 3
		.amdhsa_dx10_clamp 1
		.amdhsa_ieee_mode 1
		.amdhsa_fp16_overflow 0
		.amdhsa_exception_fp_ieee_invalid_op 0
		.amdhsa_exception_fp_denorm_src 0
		.amdhsa_exception_fp_ieee_div_zero 0
		.amdhsa_exception_fp_ieee_overflow 0
		.amdhsa_exception_fp_ieee_underflow 0
		.amdhsa_exception_fp_ieee_inexact 0
		.amdhsa_exception_int_div_zero 0
	.end_amdhsa_kernel
	.text
.Lfunc_end0:
	.size	fft_rtc_fwd_len2700_factors_3_10_10_3_3_wgs_90_tpt_90_halfLds_half_ip_CI_unitstride_sbrr_R2C_dirReg, .Lfunc_end0-fft_rtc_fwd_len2700_factors_3_10_10_3_3_wgs_90_tpt_90_halfLds_half_ip_CI_unitstride_sbrr_R2C_dirReg
                                        ; -- End function
	.section	.AMDGPU.csdata,"",@progbits
; Kernel info:
; codeLenInByte = 21548
; NumSgprs: 26
; NumVgprs: 128
; ScratchSize: 0
; MemoryBound: 0
; FloatMode: 240
; IeeeMode: 1
; LDSByteSize: 0 bytes/workgroup (compile time only)
; SGPRBlocks: 3
; VGPRBlocks: 31
; NumSGPRsForWavesPerEU: 26
; NumVGPRsForWavesPerEU: 128
; Occupancy: 2
; WaveLimiterHint : 1
; COMPUTE_PGM_RSRC2:SCRATCH_EN: 0
; COMPUTE_PGM_RSRC2:USER_SGPR: 6
; COMPUTE_PGM_RSRC2:TRAP_HANDLER: 0
; COMPUTE_PGM_RSRC2:TGID_X_EN: 1
; COMPUTE_PGM_RSRC2:TGID_Y_EN: 0
; COMPUTE_PGM_RSRC2:TGID_Z_EN: 0
; COMPUTE_PGM_RSRC2:TIDIG_COMP_CNT: 0
	.type	__hip_cuid_4270c02739229b24,@object ; @__hip_cuid_4270c02739229b24
	.section	.bss,"aw",@nobits
	.globl	__hip_cuid_4270c02739229b24
__hip_cuid_4270c02739229b24:
	.byte	0                               ; 0x0
	.size	__hip_cuid_4270c02739229b24, 1

	.ident	"AMD clang version 19.0.0git (https://github.com/RadeonOpenCompute/llvm-project roc-6.4.0 25133 c7fe45cf4b819c5991fe208aaa96edf142730f1d)"
	.section	".note.GNU-stack","",@progbits
	.addrsig
	.addrsig_sym __hip_cuid_4270c02739229b24
	.amdgpu_metadata
---
amdhsa.kernels:
  - .args:
      - .actual_access:  read_only
        .address_space:  global
        .offset:         0
        .size:           8
        .value_kind:     global_buffer
      - .offset:         8
        .size:           8
        .value_kind:     by_value
      - .actual_access:  read_only
        .address_space:  global
        .offset:         16
        .size:           8
        .value_kind:     global_buffer
      - .actual_access:  read_only
        .address_space:  global
        .offset:         24
        .size:           8
        .value_kind:     global_buffer
      - .offset:         32
        .size:           8
        .value_kind:     by_value
      - .actual_access:  read_only
        .address_space:  global
        .offset:         40
        .size:           8
        .value_kind:     global_buffer
      - .actual_access:  read_only
        .address_space:  global
        .offset:         48
        .size:           8
        .value_kind:     global_buffer
      - .offset:         56
        .size:           4
        .value_kind:     by_value
      - .actual_access:  read_only
        .address_space:  global
        .offset:         64
        .size:           8
        .value_kind:     global_buffer
      - .actual_access:  read_only
        .address_space:  global
        .offset:         72
        .size:           8
        .value_kind:     global_buffer
      - .address_space:  global
        .offset:         80
        .size:           8
        .value_kind:     global_buffer
    .group_segment_fixed_size: 0
    .kernarg_segment_align: 8
    .kernarg_segment_size: 88
    .language:       OpenCL C
    .language_version:
      - 2
      - 0
    .max_flat_workgroup_size: 90
    .name:           fft_rtc_fwd_len2700_factors_3_10_10_3_3_wgs_90_tpt_90_halfLds_half_ip_CI_unitstride_sbrr_R2C_dirReg
    .private_segment_fixed_size: 0
    .sgpr_count:     26
    .sgpr_spill_count: 0
    .symbol:         fft_rtc_fwd_len2700_factors_3_10_10_3_3_wgs_90_tpt_90_halfLds_half_ip_CI_unitstride_sbrr_R2C_dirReg.kd
    .uniform_work_group_size: 1
    .uses_dynamic_stack: false
    .vgpr_count:     128
    .vgpr_spill_count: 0
    .wavefront_size: 64
amdhsa.target:   amdgcn-amd-amdhsa--gfx906
amdhsa.version:
  - 1
  - 2
...

	.end_amdgpu_metadata
